;; amdgpu-corpus repo=ROCm/aiter kind=harvested arch=n/a opt=n/a

/root/src/amdgpu-assembly/repos/ROCm__aiter/hsa/gfx950/mla/MLA_A16W16_1TG_4W_64mx1_16nx1_Coex0_Msk1_QH16.co:	file format elf64-amdgpu

Disassembly of section .text:

0000000000002300 <_ZN5aiter39mla_a16w16_qh16_m64x1_n16x1_coex0_mask1E>:
	s_and_b32 s1, s1, 0xffff                                   // 000000002300: 8601FF01 0000FFFF
	s_load_dwordx2 s[8:9], s[0:1], 0x0                         // 000000002308: C0060200 00000000
	s_load_dwordx2 s[12:13], s[0:1], 0x10                      // 000000002310: C0060300 00000010
	s_load_dwordx2 s[16:17], s[0:1], 0x20                      // 000000002318: C0060400 00000020
	s_load_dwordx2 s[20:21], s[0:1], 0x30                      // 000000002320: C0060500 00000030
	s_load_dwordx2 s[28:29], s[0:1], 0x40                      // 000000002328: C0060700 00000040
	s_load_dwordx2 s[24:25], s[0:1], 0x50                      // 000000002330: C0060600 00000050
	s_load_dwordx2 s[30:31], s[0:1], 0x60                      // 000000002338: C0060780 00000060
	s_load_dwordx2 s[88:89], s[0:1], 0xf0                      // 000000002340: C0061600 000000F0
	s_load_dword s64, s[0:1], 0x70                             // 000000002348: C0021000 00000070
	s_load_dword s65, s[0:1], 0x80                             // 000000002350: C0021040 00000080
	s_load_dword s67, s[0:1], 0x90                             // 000000002358: C00210C0 00000090
	s_load_dword s66, s[0:1], 0xa0                             // 000000002360: C0021080 000000A0
	s_load_dword s68, s[0:1], 0xb0                             // 000000002368: C0021100 000000B0
	s_load_dword s69, s[0:1], 0xc0                             // 000000002370: C0021140 000000C0
	s_load_dwordx2 s[32:33], s[0:1], 0xd0                      // 000000002378: C0060800 000000D0
	v_lshrrev_b32_e32 v1, 10, v0                               // 000000002380: 2002008A
	v_lshrrev_b32_e32 v2, 10, v1                               // 000000002384: 2004028A
	v_and_b32_e32 v2, 0x3ff, v2                                // 000000002388: 260404FF 000003FF
	v_and_b32_e32 v1, 0x3ff, v1                                // 000000002390: 260202FF 000003FF
	v_and_b32_e32 v0, 0x3ff, v0                                // 000000002398: 260000FF 000003FF
	v_lshrrev_b32_e32 v3, 6, v0                                // 0000000023A0: 20060086
	v_and_b32_e32 v0, 63, v0                                   // 0000000023A4: 260000BF
	s_mov_b32 s2, s2                                           // 0000000023A8: BE820002
	s_mov_b32 s3, s3                                           // 0000000023AC: BE830003
	s_mov_b32 s4, s4                                           // 0000000023B0: BE840004
	v_readfirstlane_b32 s7, v3                                 // 0000000023B4: 7E0E0503
	s_waitcnt lgkmcnt(0)                                       // 0000000023B8: BF8CC07F
	s_mov_b32 s65, 64                                          // 0000000023BC: BEC100C0
	s_mul_i32 s56, s3, 4                                       // 0000000023C0: 92388403
	s_and_b32 s29, s29, 0xffff                                 // 0000000023C4: 861DFF1D 0000FFFF
	s_and_b32 s31, s31, 0xffff                                 // 0000000023CC: 861FFF1F 0000FFFF
	s_add_u32 s28, s56, s28                                    // 0000000023D4: 801C1C38
	s_addc_u32 s29, 0, s29                                     // 0000000023D8: 821D1D80
	s_load_dword s47, s[28:29], 0x0                            // 0000000023DC: C0020BCE 00000000
	s_load_dword s46, s[28:29], 0x4                            // 0000000023E4: C0020B8E 00000004
	s_mul_i32 s56, s3, 4                                       // 0000000023EC: 92388403
	s_and_b32 s33, s33, 0xffff                                 // 0000000023F0: 8621FF21 0000FFFF
	s_add_u32 s32, s56, s32                                    // 0000000023F8: 80202038
	s_addc_u32 s33, 0, s33                                     // 0000000023FC: 82212180
	s_load_dword s79, s[32:33], 0x0                            // 000000002400: C00213D0 00000000
	s_load_dword s78, s[32:33], 0x4                            // 000000002408: C0021390 00000004
	s_mul_i32 s75, 0x800, s65                                  // 000000002410: 924B41FF 00000800
	s_mul_i32 s74, 0x480, s65                                  // 000000002418: 924A41FF 00000480
	s_mul_i32 s56, 4, s65                                      // 000000002420: 92384184
	s_mov_b32 s10, s75                                         // 000000002424: BE8A004B
	s_mov_b32 s18, -16                                         // 000000002428: BE9200D0
	s_mov_b32 s14, s56                                         // 00000000242C: BE8E0038
	s_mov_b32 s22, -16                                         // 000000002430: BE9600D0
	s_mov_b32 s26, -16                                         // 000000002434: BE9A00D0
	s_mov_b32 s11, 0x20000                                     // 000000002438: BE8B00FF 00020000
	s_mov_b32 s91, 0x20000                                     // 000000002440: BEDB00FF 00020000
	s_mov_b32 s19, 0x20000                                     // 000000002448: BE9300FF 00020000
	s_mov_b32 s15, 0x20000                                     // 000000002450: BE8F00FF 00020000
	s_mov_b32 s23, 0x20000                                     // 000000002458: BE9700FF 00020000
	s_mov_b32 s27, 0x20000                                     // 000000002460: BE9B00FF 00020000
	s_and_b32 s9, s9, 0xffff                                   // 000000002468: 8609FF09 0000FFFF
	s_and_b32 s89, s89, 0xffff                                 // 000000002470: 8659FF59 0000FFFF
	s_and_b32 s17, s17, 0xffff                                 // 000000002478: 8611FF11 0000FFFF
	s_and_b32 s13, s13, 0xffff                                 // 000000002480: 860DFF0D 0000FFFF
	s_and_b32 s21, s21, 0xffff                                 // 000000002488: 8615FF15 0000FFFF
	s_and_b32 s25, s25, 0xffff                                 // 000000002490: 8619FF19 0000FFFF
	s_or_b32 s9, s9, 0x40000                                   // 000000002498: 8709FF09 00040000
	s_or_b32 s89, s89, 0x40000                                 // 0000000024A0: 8759FF59 00040000
	s_or_b32 s17, s17, 0x40000                                 // 0000000024A8: 8711FF11 00040000
	s_or_b32 s13, s13, 0x40000                                 // 0000000024B0: 870DFF0D 00040000
	s_or_b32 s21, s21, 0x40000                                 // 0000000024B8: 8715FF15 00040000
	s_or_b32 s25, s25, 0x40000                                 // 0000000024C0: 8719FF19 00040000
	s_waitcnt lgkmcnt(0)                                       // 0000000024C8: BF8CC07F
	s_mul_i32 s80, s2, 1                                       // 0000000024CC: 92508102
	s_sub_u32 s81, s78, s79                                    // 0000000024D0: 80D14F4E
	s_cmp_le_u32 s81, s80                                      // 0000000024D4: BF0B5051
	s_cbranch_scc1 label_1870                                  // 0000000024D8: BF8517F9
	s_mov_b32 s69, 0                                           // 0000000024DC: BEC50080
	s_lshr_b32 s44, 16, s69                                    // 0000000024E0: 8F2C4590
	s_mul_i32 s73, s44, 4                                      // 0000000024E4: 9249842C
	s_mul_i32 s73, s73, s67                                    // 0000000024E8: 92494349
	s_mul_i32 s45, s4, s44                                     // 0000000024EC: 922D2C04
	s_sub_u32 s50, s46, s47                                    // 0000000024F0: 80B22F2E
	s_cmp_le_u32 s50, s45                                      // 0000000024F4: BF0B2D32
	s_cbranch_scc1 label_1870                                  // 0000000024F8: BF8517F1
	s_mul_i32 s56, s50, 4                                      // 0000000024FC: 92388432
	s_mov_b32 s26, s56                                         // 000000002500: BE9A0038
	s_mul_i32 s56, s47, 4                                      // 000000002504: 9238842F
	s_add_u32 s24, s56, s24                                    // 000000002508: 80181838
	s_addc_u32 s25, 0, s25                                     // 00000000250C: 82191980
	s_mov_b32 s70, 0                                           // 000000002510: BEC60080
	s_sub_u32 s71, s50, s45                                    // 000000002514: 80C72D32
	s_mul_i32 s39, s67, s44                                    // 000000002518: 92272C43
	s_mov_b32 s38, s71                                         // 00000000251C: BEA60047
	v_cvt_f32_u32_e32 v20, s39                                 // 000000002520: 7E280C27
	s_sub_i32 s56, 0, s39                                      // 000000002524: 81B82780
	v_rcp_iflag_f32_e32 v20, v20                               // 000000002528: 7E284714
	s_nop 0                                                    // 00000000252C: BF800000
	v_mul_f32_e32 v20, 0x4f7ffffe, v20                         // 000000002530: 0A2828FF 4F7FFFFE
	v_cvt_u32_f32_e32 v20, v20                                 // 000000002538: 7E280F14
	v_mul_lo_u32 v21, s56, v20                                 // 00000000253C: D2850015 00022838
	v_mul_hi_u32 v21, v20, v21                                 // 000000002544: D2860015 00022B14
	v_add_u32_e32 v20, v20, v21                                // 00000000254C: 68282B14
	v_mul_hi_u32 v20, s38, v20                                 // 000000002550: D2860014 00022826
	v_mul_lo_u32 v21, v20, s39                                 // 000000002558: D2850015 00004F14
	v_sub_u32_e32 v23, s38, v21                                // 000000002560: 6A2E2A26
	v_add_u32_e32 v22, 1, v20                                  // 000000002564: 682C2881
	v_cmp_le_u32_e32 vcc, s39, v23                             // 000000002568: 7D962E27
	v_subrev_u32_e32 v21, s39, v23                             // 00000000256C: 6C2A2E27
	s_nop 0                                                    // 000000002570: BF800000
	v_cndmask_b32_e32 v20, v20, v22, vcc                       // 000000002574: 00282D14
	v_cndmask_b32_e32 v23, v23, v21, vcc                       // 000000002578: 002E2B17
	v_add_u32_e32 v21, 1, v20                                  // 00000000257C: 682A2881
	v_cmp_le_u32_e32 vcc, s39, v23                             // 000000002580: 7D962E27
	s_nop 1                                                    // 000000002584: BF800001
	v_cndmask_b32_e32 v23, v20, v21, vcc                       // 000000002588: 002E2B14
	s_nop 3                                                    // 00000000258C: BF800003
	v_readfirstlane_b32 s40, v23                               // 000000002590: 7E500517
	s_nop 3                                                    // 000000002594: BF800003
	s_mov_b32 s71, s40                                         // 000000002598: BEC70028
	s_mul_i32 s56, s71, s39                                    // 00000000259C: 92382747
	s_sub_u32 s56, s38, s56                                    // 0000000025A0: 80B83826
	s_mov_b32 s57, 0                                           // 0000000025A4: BEB90080
	s_cmp_lt_u32 s56, s44                                      // 0000000025A8: BF0A2C38
	s_cselect_b32 s57, s57, 1                                  // 0000000025AC: 85398139
	s_add_u32 s71, s57, s71                                    // 0000000025B0: 80474739
	s_cmpk_eq_u32 s57, 0x1                                     // 0000000025B4: B4390001
	s_cselect_b32 s49, 0, s56                                  // 0000000025B8: 85313880
	s_mov_b32 s48, s49                                         // 0000000025BC: BEB00031
	v_lshrrev_b32_e32 v20, 3, v0                               // 0000000025C0: 20280083
	v_and_b32_e32 v21, 1, v20                                  // 0000000025C4: 262A2881
	v_lshlrev_b32_e32 v8, 3, v21                               // 0000000025C8: 24102A83
	v_and_b32_e32 v20, 4, v20                                  // 0000000025CC: 26282884
	v_add_u32_e32 v8, v8, v20                                  // 0000000025D0: 68102908
	v_add_u32_e64 v8, v8, s7                                   // 0000000025D4: D1340008 00000F08
	v_add_u32_e32 v8, s45, v8                                  // 0000000025DC: 6810102D
	v_lshlrev_b32_e32 v8, 2, v8                                // 0000000025E0: 24101082
	buffer_load_dword v10, v8, s[24:27], 0 offen               // 0000000025E4: E0501000 80060A08
	v_add_u32_e32 v8, s73, v8                                  // 0000000025EC: 68101049
	buffer_load_dword v11, v8, s[24:27], 0 offen               // 0000000025F0: E0501000 80060B08
	v_add_u32_e32 v8, s73, v8                                  // 0000000025F8: 68101049
	s_add_u32 s56, s80, s79                                    // 0000000025FC: 80384F50
	v_mov_b32_e32 v20, s56                                     // 000000002600: 7E280238
	v_mul_lo_u32 v21, s74, v20                                 // 000000002604: D2850015 0002284A
	v_mul_hi_u32 v22, s74, v20                                 // 00000000260C: D2860016 0002284A
	s_nop 2                                                    // 000000002614: BF800002
	v_readfirstlane_b32 s56, v21                               // 000000002618: 7E700515
	v_readfirstlane_b32 s57, v22                               // 00000000261C: 7E720516
	s_nop 4                                                    // 000000002620: BF800004
	s_add_u32 s16, s56, s16                                    // 000000002624: 80101038
	s_addc_u32 s17, s57, s17                                   // 000000002628: 82111139
	s_sub_u32 s56, s81, s80                                    // 00000000262C: 80B85051
	s_mul_i32 s56, s56, s74                                    // 000000002630: 92384A38
	s_mov_b32 s18, s56                                         // 000000002634: BE920038
	s_mul_i32 s56, s7, 0x480                                   // 000000002638: 9238FF07 00000480
	v_lshlrev_b32_e32 v30, 2, v0                               // 000000002640: 243C0082
	v_add_u32_e32 v30, s56, v30                                // 000000002644: 683C3C38
	s_mul_i32 s56, s7, 0x1420                                  // 000000002648: 9238FF07 00001420
	s_add_u32 s34, 0, s56                                      // 000000002650: 80223880
	s_add_u32 s35, 0x5080, s34                                 // 000000002654: 802322FF 00005080
	s_add_u32 s36, 0x5080, s35                                 // 00000000265C: 802423FF 00005080
	v_lshrrev_b32_e32 v20, 4, v0                               // 000000002664: 20280084
	v_lshlrev_b32_e32 v21, 2, v20                              // 000000002668: 242A2882
	v_and_b32_e32 v20, 15, v0                                  // 00000000266C: 2628008F
	v_lshrrev_b32_e32 v22, 2, v20                              // 000000002670: 202C2882
	v_mul_i32_i24_e32 v22, 0x140, v22                          // 000000002674: 0C2C2CFF 00000140
	v_add_u32_e32 v21, v22, v21                                // 00000000267C: 682A2B16
	v_and_b32_e32 v20, 3, v0                                   // 000000002680: 26280083
	v_mul_i32_i24_e32 v22, 0x508, v20                          // 000000002684: 0C2C28FF 00000508
	v_add_u32_e32 v21, v22, v21                                // 00000000268C: 682A2B16
	v_lshlrev_b32_e32 v29, 2, v21                              // 000000002690: 243A2A82
	s_mov_b32 m0, s34                                          // 000000002694: BEFC0022
	v_add_u32_e32 v28, 0, v30                                  // 000000002698: 68383C80
	buffer_load_dword v28, s[16:19], 0 offen lds               // 00000000269C: E0511000 8004001C
	buffer_load_dword v28, s[16:19], 0 offen offset:256 lds    // 0000000026A4: E0511100 8004001C
	buffer_load_dword v28, s[16:19], 0 offen offset:512 lds    // 0000000026AC: E0511200 8004001C
	buffer_load_dword v28, s[16:19], 0 offen offset:768 lds    // 0000000026B4: E0511300 8004001C
	buffer_load_dword v28, s[16:19], 0 offen offset:1024 lds   // 0000000026BC: E0511400 8004001C
	s_add_u32 m0, m0, 0x500                                    // 0000000026C4: 807CFF7C 00000500
	v_add_u32_e32 v28, 0x1200, v28                             // 0000000026CC: 683838FF 00001200
	buffer_load_dword v28, s[16:19], 0 offen lds               // 0000000026D4: E0511000 8004001C
	buffer_load_dword v28, s[16:19], 0 offen offset:256 lds    // 0000000026DC: E0511100 8004001C
	buffer_load_dword v28, s[16:19], 0 offen offset:512 lds    // 0000000026E4: E0511200 8004001C
	buffer_load_dword v28, s[16:19], 0 offen offset:768 lds    // 0000000026EC: E0511300 8004001C
	buffer_load_dword v28, s[16:19], 0 offen offset:1024 lds   // 0000000026F4: E0511400 8004001C
	s_add_u32 m0, m0, 0x500                                    // 0000000026FC: 807CFF7C 00000500
	v_add_u32_e32 v28, 0x1200, v28                             // 000000002704: 683838FF 00001200
	buffer_load_dword v28, s[16:19], 0 offen lds               // 00000000270C: E0511000 8004001C
	buffer_load_dword v28, s[16:19], 0 offen offset:256 lds    // 000000002714: E0511100 8004001C
	buffer_load_dword v28, s[16:19], 0 offen offset:512 lds    // 00000000271C: E0511200 8004001C
	buffer_load_dword v28, s[16:19], 0 offen offset:768 lds    // 000000002724: E0511300 8004001C
	buffer_load_dword v28, s[16:19], 0 offen offset:1024 lds   // 00000000272C: E0511400 8004001C
	s_add_u32 m0, m0, 0x500                                    // 000000002734: 807CFF7C 00000500
	v_add_u32_e32 v28, 0x1200, v28                             // 00000000273C: 683838FF 00001200
	buffer_load_dword v28, s[16:19], 0 offen lds               // 000000002744: E0511000 8004001C
	buffer_load_dword v28, s[16:19], 0 offen offset:256 lds    // 00000000274C: E0511100 8004001C
	buffer_load_dword v28, s[16:19], 0 offen offset:512 lds    // 000000002754: E0511200 8004001C
	buffer_load_dword v28, s[16:19], 0 offen offset:768 lds    // 00000000275C: E0511300 8004001C
	buffer_load_dword v28, s[16:19], 0 offen offset:1024 lds   // 000000002764: E0511400 8004001C
	s_add_u32 m0, m0, 0x500                                    // 00000000276C: 807CFF7C 00000500
	v_add_u32_e32 v28, 0x1200, v28                             // 000000002774: 683838FF 00001200
	s_mov_b32 m0, s35                                          // 00000000277C: BEFC0023
	v_add_u32_e32 v28, 0x4800, v30                             // 000000002780: 68383CFF 00004800
	buffer_load_dword v28, s[16:19], 0 offen lds               // 000000002788: E0511000 8004001C
	buffer_load_dword v28, s[16:19], 0 offen offset:256 lds    // 000000002790: E0511100 8004001C
	buffer_load_dword v28, s[16:19], 0 offen offset:512 lds    // 000000002798: E0511200 8004001C
	buffer_load_dword v28, s[16:19], 0 offen offset:768 lds    // 0000000027A0: E0511300 8004001C
	buffer_load_dword v28, s[16:19], 0 offen offset:1024 lds   // 0000000027A8: E0511400 8004001C
	s_add_u32 m0, m0, 0x500                                    // 0000000027B0: 807CFF7C 00000500
	v_add_u32_e32 v28, 0x1200, v28                             // 0000000027B8: 683838FF 00001200
	buffer_load_dword v28, s[16:19], 0 offen lds               // 0000000027C0: E0511000 8004001C
	buffer_load_dword v28, s[16:19], 0 offen offset:256 lds    // 0000000027C8: E0511100 8004001C
	buffer_load_dword v28, s[16:19], 0 offen offset:512 lds    // 0000000027D0: E0511200 8004001C
	buffer_load_dword v28, s[16:19], 0 offen offset:768 lds    // 0000000027D8: E0511300 8004001C
	buffer_load_dword v28, s[16:19], 0 offen offset:1024 lds   // 0000000027E0: E0511400 8004001C
	s_add_u32 m0, m0, 0x500                                    // 0000000027E8: 807CFF7C 00000500
	v_add_u32_e32 v28, 0x1200, v28                             // 0000000027F0: 683838FF 00001200
	buffer_load_dword v28, s[16:19], 0 offen lds               // 0000000027F8: E0511000 8004001C
	buffer_load_dword v28, s[16:19], 0 offen offset:256 lds    // 000000002800: E0511100 8004001C
	buffer_load_dword v28, s[16:19], 0 offen offset:512 lds    // 000000002808: E0511200 8004001C
	buffer_load_dword v28, s[16:19], 0 offen offset:768 lds    // 000000002810: E0511300 8004001C
	buffer_load_dword v28, s[16:19], 0 offen offset:1024 lds   // 000000002818: E0511400 8004001C
	s_add_u32 m0, m0, 0x500                                    // 000000002820: 807CFF7C 00000500
	v_add_u32_e32 v28, 0x1200, v28                             // 000000002828: 683838FF 00001200
	buffer_load_dword v28, s[16:19], 0 offen lds               // 000000002830: E0511000 8004001C
	buffer_load_dword v28, s[16:19], 0 offen offset:256 lds    // 000000002838: E0511100 8004001C
	buffer_load_dword v28, s[16:19], 0 offen offset:512 lds    // 000000002840: E0511200 8004001C
	buffer_load_dword v28, s[16:19], 0 offen offset:768 lds    // 000000002848: E0511300 8004001C
	buffer_load_dword v28, s[16:19], 0 offen offset:1024 lds   // 000000002850: E0511400 8004001C
	s_add_u32 m0, m0, 0x500                                    // 000000002858: 807CFF7C 00000500
	v_add_u32_e32 v28, 0x1200, v28                             // 000000002860: 683838FF 00001200
	s_waitcnt vmcnt(20)                                        // 000000002868: BF8C4F74
	s_barrier                                                  // 00000000286C: BF8A0000
	s_mov_b32 m0, s36                                          // 000000002870: BEFC0024
	v_add_u32_e32 v28, 0x9000, v30                             // 000000002874: 68383CFF 00009000
	buffer_load_dword v28, s[16:19], 0 offen lds               // 00000000287C: E0511000 8004001C
	buffer_load_dword v28, s[16:19], 0 offen offset:256 lds    // 000000002884: E0511100 8004001C
	buffer_load_dword v28, s[16:19], 0 offen offset:512 lds    // 00000000288C: E0511200 8004001C
	buffer_load_dword v28, s[16:19], 0 offen offset:768 lds    // 000000002894: E0511300 8004001C
	buffer_load_dword v28, s[16:19], 0 offen offset:1024 lds   // 00000000289C: E0511400 8004001C
	s_add_u32 m0, m0, 0x500                                    // 0000000028A4: 807CFF7C 00000500
	v_add_u32_e32 v28, 0x1200, v28                             // 0000000028AC: 683838FF 00001200
	buffer_load_dword v28, s[16:19], 0 offen lds               // 0000000028B4: E0511000 8004001C
	buffer_load_dword v28, s[16:19], 0 offen offset:256 lds    // 0000000028BC: E0511100 8004001C
	buffer_load_dword v28, s[16:19], 0 offen offset:512 lds    // 0000000028C4: E0511200 8004001C
	buffer_load_dword v28, s[16:19], 0 offen offset:768 lds    // 0000000028CC: E0511300 8004001C
	buffer_load_dword v28, s[16:19], 0 offen offset:1024 lds   // 0000000028D4: E0511400 8004001C
	s_add_u32 m0, m0, 0x500                                    // 0000000028DC: 807CFF7C 00000500
	v_add_u32_e32 v28, 0x1200, v28                             // 0000000028E4: 683838FF 00001200
	buffer_load_dword v28, s[16:19], 0 offen lds               // 0000000028EC: E0511000 8004001C
	buffer_load_dword v28, s[16:19], 0 offen offset:256 lds    // 0000000028F4: E0511100 8004001C
	buffer_load_dword v28, s[16:19], 0 offen offset:512 lds    // 0000000028FC: E0511200 8004001C
	buffer_load_dword v28, s[16:19], 0 offen offset:768 lds    // 000000002904: E0511300 8004001C
	buffer_load_dword v28, s[16:19], 0 offen offset:1024 lds   // 00000000290C: E0511400 8004001C
	s_add_u32 m0, m0, 0x500                                    // 000000002914: 807CFF7C 00000500
	v_add_u32_e32 v28, 0x1200, v28                             // 00000000291C: 683838FF 00001200
	buffer_load_dword v28, s[16:19], 0 offen lds               // 000000002924: E0511000 8004001C
	buffer_load_dword v28, s[16:19], 0 offen offset:256 lds    // 00000000292C: E0511100 8004001C
	buffer_load_dword v28, s[16:19], 0 offen offset:512 lds    // 000000002934: E0511200 8004001C
	buffer_load_dword v28, s[16:19], 0 offen offset:768 lds    // 00000000293C: E0511300 8004001C
	buffer_load_dword v28, s[16:19], 0 offen offset:1024 lds   // 000000002944: E0511400 8004001C
	s_add_u32 m0, m0, 0x500                                    // 00000000294C: 807CFF7C 00000500
	v_add_u32_e32 v28, 0x1200, v28                             // 000000002954: 683838FF 00001200
	s_cmp_eq_i32 s7, 0                                         // 00000000295C: BF008007
	s_cbranch_scc0 label_01BE                                  // 000000002960: BF840025
	ds_read_b128 a[0:3], v29                                   // 000000002964: DBFE0000 0000001D
	ds_read_b128 a[4:7], v29 offset:64                         // 00000000296C: DBFE0040 0400001D
	ds_read_b128 a[8:11], v29 offset:128                       // 000000002974: DBFE0080 0800001D
	ds_read_b128 a[12:15], v29 offset:192                      // 00000000297C: DBFE00C0 0C00001D
	ds_read_b128 a[16:19], v29 offset:256                      // 000000002984: DBFE0100 1000001D
	ds_read_b128 a[20:23], v29 offset:320                      // 00000000298C: DBFE0140 1400001D
	ds_read_b128 a[24:27], v29 offset:384                      // 000000002994: DBFE0180 1800001D
	ds_read_b128 a[28:31], v29 offset:448                      // 00000000299C: DBFE01C0 1C00001D
	ds_read_b128 a[32:35], v29 offset:512                      // 0000000029A4: DBFE0200 2000001D
	ds_read_b128 a[36:39], v29 offset:576                      // 0000000029AC: DBFE0240 2400001D
	ds_read_b128 a[40:43], v29 offset:640                      // 0000000029B4: DBFE0280 2800001D
	ds_read_b128 a[44:47], v29 offset:704                      // 0000000029BC: DBFE02C0 2C00001D
	ds_read_b128 a[48:51], v29 offset:768                      // 0000000029C4: DBFE0300 3000001D
	ds_read_b128 a[52:55], v29 offset:832                      // 0000000029CC: DBFE0340 3400001D
	ds_read_b128 a[56:59], v29 offset:896                      // 0000000029D4: DBFE0380 3800001D
	ds_read_b128 a[60:63], v29 offset:960                      // 0000000029DC: DBFE03C0 3C00001D
	ds_read_b128 a[64:67], v29 offset:1024                     // 0000000029E4: DBFE0400 4000001D
	ds_read_b128 a[68:71], v29 offset:1088                     // 0000000029EC: DBFE0440 4400001D
	s_waitcnt lgkmcnt(0)                                       // 0000000029F4: BF8CC07F

00000000000029f8 <label_01BE>:
	s_waitcnt vmcnt(20)                                        // 0000000029F8: BF8C4F74
	s_barrier                                                  // 0000000029FC: BF8A0000
	s_mov_b32 m0, s34                                          // 000000002A00: BEFC0022
	v_add_u32_e32 v28, 0xd800, v30                             // 000000002A04: 68383CFF 0000D800
	buffer_load_dword v28, s[16:19], 0 offen lds               // 000000002A0C: E0511000 8004001C
	buffer_load_dword v28, s[16:19], 0 offen offset:256 lds    // 000000002A14: E0511100 8004001C
	buffer_load_dword v28, s[16:19], 0 offen offset:512 lds    // 000000002A1C: E0511200 8004001C
	buffer_load_dword v28, s[16:19], 0 offen offset:768 lds    // 000000002A24: E0511300 8004001C
	buffer_load_dword v28, s[16:19], 0 offen offset:1024 lds   // 000000002A2C: E0511400 8004001C
	s_add_u32 m0, m0, 0x500                                    // 000000002A34: 807CFF7C 00000500
	v_add_u32_e32 v28, 0x1200, v28                             // 000000002A3C: 683838FF 00001200
	buffer_load_dword v28, s[16:19], 0 offen lds               // 000000002A44: E0511000 8004001C
	buffer_load_dword v28, s[16:19], 0 offen offset:256 lds    // 000000002A4C: E0511100 8004001C
	buffer_load_dword v28, s[16:19], 0 offen offset:512 lds    // 000000002A54: E0511200 8004001C
	buffer_load_dword v28, s[16:19], 0 offen offset:768 lds    // 000000002A5C: E0511300 8004001C
	buffer_load_dword v28, s[16:19], 0 offen offset:1024 lds   // 000000002A64: E0511400 8004001C
	s_add_u32 m0, m0, 0x500                                    // 000000002A6C: 807CFF7C 00000500
	v_add_u32_e32 v28, 0x1200, v28                             // 000000002A74: 683838FF 00001200
	buffer_load_dword v28, s[16:19], 0 offen lds               // 000000002A7C: E0511000 8004001C
	buffer_load_dword v28, s[16:19], 0 offen offset:256 lds    // 000000002A84: E0511100 8004001C
	buffer_load_dword v28, s[16:19], 0 offen offset:512 lds    // 000000002A8C: E0511200 8004001C
	buffer_load_dword v28, s[16:19], 0 offen offset:768 lds    // 000000002A94: E0511300 8004001C
	buffer_load_dword v28, s[16:19], 0 offen offset:1024 lds   // 000000002A9C: E0511400 8004001C
	s_add_u32 m0, m0, 0x500                                    // 000000002AA4: 807CFF7C 00000500
	v_add_u32_e32 v28, 0x1200, v28                             // 000000002AAC: 683838FF 00001200
	buffer_load_dword v28, s[16:19], 0 offen lds               // 000000002AB4: E0511000 8004001C
	buffer_load_dword v28, s[16:19], 0 offen offset:256 lds    // 000000002ABC: E0511100 8004001C
	buffer_load_dword v28, s[16:19], 0 offen offset:512 lds    // 000000002AC4: E0511200 8004001C
	buffer_load_dword v28, s[16:19], 0 offen offset:768 lds    // 000000002ACC: E0511300 8004001C
	buffer_load_dword v28, s[16:19], 0 offen offset:1024 lds   // 000000002AD4: E0511400 8004001C
	s_add_u32 m0, m0, 0x500                                    // 000000002ADC: 807CFF7C 00000500
	v_add_u32_e32 v28, 0x1200, v28                             // 000000002AE4: 683838FF 00001200
	s_cmp_eq_i32 s7, 1                                         // 000000002AEC: BF008107
	s_cbranch_scc0 label_0222                                  // 000000002AF0: BF840025
	ds_read_b128 a[0:3], v29 offset:20608                      // 000000002AF4: DBFE5080 0000001D
	ds_read_b128 a[4:7], v29 offset:20672                      // 000000002AFC: DBFE50C0 0400001D
	ds_read_b128 a[8:11], v29 offset:20736                     // 000000002B04: DBFE5100 0800001D
	ds_read_b128 a[12:15], v29 offset:20800                    // 000000002B0C: DBFE5140 0C00001D
	ds_read_b128 a[16:19], v29 offset:20864                    // 000000002B14: DBFE5180 1000001D
	ds_read_b128 a[20:23], v29 offset:20928                    // 000000002B1C: DBFE51C0 1400001D
	ds_read_b128 a[24:27], v29 offset:20992                    // 000000002B24: DBFE5200 1800001D
	ds_read_b128 a[28:31], v29 offset:21056                    // 000000002B2C: DBFE5240 1C00001D
	ds_read_b128 a[32:35], v29 offset:21120                    // 000000002B34: DBFE5280 2000001D
	ds_read_b128 a[36:39], v29 offset:21184                    // 000000002B3C: DBFE52C0 2400001D
	ds_read_b128 a[40:43], v29 offset:21248                    // 000000002B44: DBFE5300 2800001D
	ds_read_b128 a[44:47], v29 offset:21312                    // 000000002B4C: DBFE5340 2C00001D
	ds_read_b128 a[48:51], v29 offset:21376                    // 000000002B54: DBFE5380 3000001D
	ds_read_b128 a[52:55], v29 offset:21440                    // 000000002B5C: DBFE53C0 3400001D
	ds_read_b128 a[56:59], v29 offset:21504                    // 000000002B64: DBFE5400 3800001D
	ds_read_b128 a[60:63], v29 offset:21568                    // 000000002B6C: DBFE5440 3C00001D
	ds_read_b128 a[64:67], v29 offset:21632                    // 000000002B74: DBFE5480 4000001D
	ds_read_b128 a[68:71], v29 offset:21696                    // 000000002B7C: DBFE54C0 4400001D
	s_waitcnt lgkmcnt(0)                                       // 000000002B84: BF8CC07F

0000000000002b88 <label_0222>:
	s_waitcnt vmcnt(20)                                        // 000000002B88: BF8C4F74
	s_barrier                                                  // 000000002B8C: BF8A0000
	s_cmp_eq_i32 s7, 2                                         // 000000002B90: BF008207
	s_cbranch_scc0 label_024B                                  // 000000002B94: BF840025
	ds_read_b128 a[0:3], v29 offset:41216                      // 000000002B98: DBFEA100 0000001D
	ds_read_b128 a[4:7], v29 offset:41280                      // 000000002BA0: DBFEA140 0400001D
	ds_read_b128 a[8:11], v29 offset:41344                     // 000000002BA8: DBFEA180 0800001D
	ds_read_b128 a[12:15], v29 offset:41408                    // 000000002BB0: DBFEA1C0 0C00001D
	ds_read_b128 a[16:19], v29 offset:41472                    // 000000002BB8: DBFEA200 1000001D
	ds_read_b128 a[20:23], v29 offset:41536                    // 000000002BC0: DBFEA240 1400001D
	ds_read_b128 a[24:27], v29 offset:41600                    // 000000002BC8: DBFEA280 1800001D
	ds_read_b128 a[28:31], v29 offset:41664                    // 000000002BD0: DBFEA2C0 1C00001D
	ds_read_b128 a[32:35], v29 offset:41728                    // 000000002BD8: DBFEA300 2000001D
	ds_read_b128 a[36:39], v29 offset:41792                    // 000000002BE0: DBFEA340 2400001D
	ds_read_b128 a[40:43], v29 offset:41856                    // 000000002BE8: DBFEA380 2800001D
	ds_read_b128 a[44:47], v29 offset:41920                    // 000000002BF0: DBFEA3C0 2C00001D
	ds_read_b128 a[48:51], v29 offset:41984                    // 000000002BF8: DBFEA400 3000001D
	ds_read_b128 a[52:55], v29 offset:42048                    // 000000002C00: DBFEA440 3400001D
	ds_read_b128 a[56:59], v29 offset:42112                    // 000000002C08: DBFEA480 3800001D
	ds_read_b128 a[60:63], v29 offset:42176                    // 000000002C10: DBFEA4C0 3C00001D
	ds_read_b128 a[64:67], v29 offset:42240                    // 000000002C18: DBFEA500 4000001D
	ds_read_b128 a[68:71], v29 offset:42304                    // 000000002C20: DBFEA540 4400001D
	s_waitcnt lgkmcnt(0)                                       // 000000002C28: BF8CC07F

0000000000002c2c <label_024B>:
	s_waitcnt vmcnt(0)                                         // 000000002C2C: BF8C0F70
	s_barrier                                                  // 000000002C30: BF8A0000
	s_cmp_eq_i32 s7, 3                                         // 000000002C34: BF008307
	s_cbranch_scc0 label_0274                                  // 000000002C38: BF840025
	ds_read_b128 a[0:3], v29                                   // 000000002C3C: DBFE0000 0000001D
	ds_read_b128 a[4:7], v29 offset:64                         // 000000002C44: DBFE0040 0400001D
	ds_read_b128 a[8:11], v29 offset:128                       // 000000002C4C: DBFE0080 0800001D
	ds_read_b128 a[12:15], v29 offset:192                      // 000000002C54: DBFE00C0 0C00001D
	ds_read_b128 a[16:19], v29 offset:256                      // 000000002C5C: DBFE0100 1000001D
	ds_read_b128 a[20:23], v29 offset:320                      // 000000002C64: DBFE0140 1400001D
	ds_read_b128 a[24:27], v29 offset:384                      // 000000002C6C: DBFE0180 1800001D
	ds_read_b128 a[28:31], v29 offset:448                      // 000000002C74: DBFE01C0 1C00001D
	ds_read_b128 a[32:35], v29 offset:512                      // 000000002C7C: DBFE0200 2000001D
	ds_read_b128 a[36:39], v29 offset:576                      // 000000002C84: DBFE0240 2400001D
	ds_read_b128 a[40:43], v29 offset:640                      // 000000002C8C: DBFE0280 2800001D
	ds_read_b128 a[44:47], v29 offset:704                      // 000000002C94: DBFE02C0 2C00001D
	ds_read_b128 a[48:51], v29 offset:768                      // 000000002C9C: DBFE0300 3000001D
	ds_read_b128 a[52:55], v29 offset:832                      // 000000002CA4: DBFE0340 3400001D
	ds_read_b128 a[56:59], v29 offset:896                      // 000000002CAC: DBFE0380 3800001D
	ds_read_b128 a[60:63], v29 offset:960                      // 000000002CB4: DBFE03C0 3C00001D
	ds_read_b128 a[64:67], v29 offset:1024                     // 000000002CBC: DBFE0400 4000001D
	ds_read_b128 a[68:71], v29 offset:1088                     // 000000002CC4: DBFE0440 4400001D
	s_waitcnt lgkmcnt(0)                                       // 000000002CCC: BF8CC07F

0000000000002cd0 <label_0274>:
	s_waitcnt vmcnt(0)                                         // 000000002CD0: BF8C0F70
	s_barrier                                                  // 000000002CD4: BF8A0000
	s_mov_b32 s52, 0x7060302                                   // 000000002CD8: BEB400FF 07060302
	s_mov_b32 s53, 0x5040100                                   // 000000002CE0: BEB500FF 05040100
	s_mov_b32 s6, 0x3fb8aa3b                                   // 000000002CE8: BE8600FF 3FB8AA3B
	v_mov_b32_e32 v21, s6                                      // 000000002CF0: 7E2A0206
	v_mov_b32_e32 v20, s64                                     // 000000002CF4: 7E280240
	v_mul_f32_e32 v20, s6, v20                                 // 000000002CF8: 0A282806
	v_rcp_f32_e32 v21, v21                                     // 000000002CFC: 7E2A4515
	v_mov_b32_e32 v12, 0xff7fffff                              // 000000002D00: 7E1802FF FF7FFFFF
	v_mov_b32_e32 v13, 0xff7fffff                              // 000000002D08: 7E1A02FF FF7FFFFF
	v_mov_b32_e32 v16, 0                                       // 000000002D10: 7E200280
	v_mov_b32_e32 v17, 0                                       // 000000002D14: 7E220280
	v_mov_b32_e32 v14, 0                                       // 000000002D18: 7E1C0280
	v_mov_b32_e32 v15, 0                                       // 000000002D1C: 7E1E0280
	v_mov_b32_e32 v9, s68                                      // 000000002D20: 7E120244
	v_readfirstlane_b32 s5, v20                                // 000000002D24: 7E0A0514
	v_readfirstlane_b32 s63, v21                               // 000000002D28: 7E7E0515
	v_and_b32_e32 v2, 15, v0                                   // 000000002D2C: 2604008F
	v_lshlrev_b32_e32 v2, 2, v2                                // 000000002D30: 24040482
	s_mul_i32 s56, 0x100, s7                                   // 000000002D34: 923807FF 00000100
	v_add_u32_e32 v2, s56, v2                                  // 000000002D3C: 68040438
	v_lshlrev_b32_e32 v3, 2, v0                                // 000000002D40: 24060082
	s_mul_i32 s56, 0x100, s7                                   // 000000002D44: 923807FF 00000100
	v_add_u32_e32 v3, s56, v3                                  // 000000002D4C: 68060638
	v_and_b32_e32 v20, 31, v0                                  // 000000002D50: 2628009F
	v_lshlrev_b32_e32 v1, 2, v20                               // 000000002D54: 24022882
	s_mul_i32 s34, s7, 0x1220                                  // 000000002D58: 9222FF07 00001220
	s_add_u32 s34, 0, s34                                      // 000000002D60: 80222280
	s_add_u32 s35, 0x900, s34                                  // 000000002D64: 802322FF 00000900
	s_add_u32 s36, 0x4880, s34                                 // 000000002D6C: 802422FF 00004880
	s_add_u32 s37, 0x4880, s35                                 // 000000002D74: 802523FF 00004880
	s_waitcnt vmcnt(0)                                         // 000000002D7C: BF8C0F70
	v_mul_u32_u24_dpp v18, v10, v9 row_newbcast:0 row_mask:0xf bank_mask:0xf// 000000002D80: 102412FA FF01500A
	v_mul_u32_u24_dpp v19, v10, v9 row_newbcast:8 row_mask:0xf bank_mask:0xf// 000000002D88: 102612FA FF01580A
	v_add_u32_e32 v18, v18, v1                                 // 000000002D90: 68240312
	v_add_u32_e32 v19, v19, v1                                 // 000000002D94: 68260313
	s_mov_b32 m0, s34                                          // 000000002D98: BEFC0022
	buffer_load_dword v18, s[20:23], 0 offen lds               // 000000002D9C: E0511000 80050012
	s_add_u32 m0, 0, s35                                       // 000000002DA4: 807C2380
	buffer_load_dword v19, s[20:23], 0 offen lds               // 000000002DA8: E0511000 80050013
	s_add_u32 m0, 0x80, s34                                    // 000000002DB0: 807C22FF 00000080
	buffer_load_dword v18, s[20:23], 0 offen offset:128 lds    // 000000002DB8: E0511080 80050012
	s_add_u32 m0, 0x80, s35                                    // 000000002DC0: 807C23FF 00000080
	buffer_load_dword v19, s[20:23], 0 offen offset:128 lds    // 000000002DC8: E0511080 80050013
	s_add_u32 m0, 0x100, s34                                   // 000000002DD0: 807C22FF 00000100
	buffer_load_dword v18, s[20:23], 0 offen offset:256 lds    // 000000002DD8: E0511100 80050012
	s_add_u32 m0, 0x100, s35                                   // 000000002DE0: 807C23FF 00000100
	buffer_load_dword v19, s[20:23], 0 offen offset:256 lds    // 000000002DE8: E0511100 80050013
	s_add_u32 m0, 0x180, s34                                   // 000000002DF0: 807C22FF 00000180
	buffer_load_dword v18, s[20:23], 0 offen offset:384 lds    // 000000002DF8: E0511180 80050012
	s_add_u32 m0, 0x180, s35                                   // 000000002E00: 807C23FF 00000180
	buffer_load_dword v19, s[20:23], 0 offen offset:384 lds    // 000000002E08: E0511180 80050013
	s_add_u32 m0, 0x200, s34                                   // 000000002E10: 807C22FF 00000200
	buffer_load_dword v18, s[20:23], 0 offen offset:512 lds    // 000000002E18: E0511200 80050012
	s_add_u32 m0, 0x200, s35                                   // 000000002E20: 807C23FF 00000200
	buffer_load_dword v19, s[20:23], 0 offen offset:512 lds    // 000000002E28: E0511200 80050013
	s_add_u32 m0, 0x280, s34                                   // 000000002E30: 807C22FF 00000280
	buffer_load_dword v18, s[20:23], 0 offen offset:640 lds    // 000000002E38: E0511280 80050012
	s_add_u32 m0, 0x280, s35                                   // 000000002E40: 807C23FF 00000280
	buffer_load_dword v19, s[20:23], 0 offen offset:640 lds    // 000000002E48: E0511280 80050013
	s_add_u32 m0, 0x300, s34                                   // 000000002E50: 807C22FF 00000300
	buffer_load_dword v18, s[20:23], 0 offen offset:768 lds    // 000000002E58: E0511300 80050012
	s_add_u32 m0, 0x300, s35                                   // 000000002E60: 807C23FF 00000300
	buffer_load_dword v19, s[20:23], 0 offen offset:768 lds    // 000000002E68: E0511300 80050013
	s_add_u32 m0, 0x380, s34                                   // 000000002E70: 807C22FF 00000380
	buffer_load_dword v18, s[20:23], 0 offen offset:896 lds    // 000000002E78: E0511380 80050012
	s_add_u32 m0, 0x380, s35                                   // 000000002E80: 807C23FF 00000380
	buffer_load_dword v19, s[20:23], 0 offen offset:896 lds    // 000000002E88: E0511380 80050013
	s_add_u32 m0, 0x400, s34                                   // 000000002E90: 807C22FF 00000400
	buffer_load_dword v18, s[20:23], 0 offen offset:1024 lds   // 000000002E98: E0511400 80050012
	s_add_u32 m0, 0x400, s35                                   // 000000002EA0: 807C23FF 00000400
	buffer_load_dword v19, s[20:23], 0 offen offset:1024 lds   // 000000002EA8: E0511400 80050013
	s_add_u32 m0, 0x480, s34                                   // 000000002EB0: 807C22FF 00000480
	buffer_load_dword v10, v8, s[24:27], 0 offen               // 000000002EB8: E0501000 80060A08
	v_add_u32_e32 v8, s73, v8                                  // 000000002EC0: 68101049
	v_mov_b32_e32 v40, 0                                       // 000000002EC4: 7E500280
	v_mov_b32_e32 v41, 0                                       // 000000002EC8: 7E520280
	v_mov_b32_e32 v42, 0                                       // 000000002ECC: 7E540280
	v_mov_b32_e32 v43, 0                                       // 000000002ED0: 7E560280
	v_mov_b32_e32 v44, 0                                       // 000000002ED4: 7E580280
	v_mov_b32_e32 v45, 0                                       // 000000002ED8: 7E5A0280
	v_mov_b32_e32 v46, 0                                       // 000000002EDC: 7E5C0280
	v_mov_b32_e32 v47, 0                                       // 000000002EE0: 7E5E0280
	v_mov_b32_e32 v48, 0                                       // 000000002EE4: 7E600280
	v_mov_b32_e32 v49, 0                                       // 000000002EE8: 7E620280
	v_mov_b32_e32 v50, 0                                       // 000000002EEC: 7E640280
	v_mov_b32_e32 v51, 0                                       // 000000002EF0: 7E660280
	v_mov_b32_e32 v52, 0                                       // 000000002EF4: 7E680280
	v_mov_b32_e32 v53, 0                                       // 000000002EF8: 7E6A0280
	v_mov_b32_e32 v54, 0                                       // 000000002EFC: 7E6C0280
	v_mov_b32_e32 v55, 0                                       // 000000002F00: 7E6E0280
	v_mov_b32_e32 v56, 0                                       // 000000002F04: 7E700280
	v_mov_b32_e32 v57, 0                                       // 000000002F08: 7E720280
	v_mov_b32_e32 v58, 0                                       // 000000002F0C: 7E740280
	v_mov_b32_e32 v59, 0                                       // 000000002F10: 7E760280
	v_mov_b32_e32 v60, 0                                       // 000000002F14: 7E780280
	v_mov_b32_e32 v61, 0                                       // 000000002F18: 7E7A0280
	v_mov_b32_e32 v62, 0                                       // 000000002F1C: 7E7C0280
	v_mov_b32_e32 v63, 0                                       // 000000002F20: 7E7E0280
	v_mov_b32_e32 v64, 0                                       // 000000002F24: 7E800280
	v_mov_b32_e32 v65, 0                                       // 000000002F28: 7E820280
	v_mov_b32_e32 v66, 0                                       // 000000002F2C: 7E840280
	v_mov_b32_e32 v67, 0                                       // 000000002F30: 7E860280
	v_mov_b32_e32 v68, 0                                       // 000000002F34: 7E880280
	v_mov_b32_e32 v69, 0                                       // 000000002F38: 7E8A0280
	v_mov_b32_e32 v70, 0                                       // 000000002F3C: 7E8C0280
	v_mov_b32_e32 v71, 0                                       // 000000002F40: 7E8E0280
	v_mov_b32_e32 v72, 0                                       // 000000002F44: 7E900280
	v_mov_b32_e32 v73, 0                                       // 000000002F48: 7E920280
	v_mov_b32_e32 v74, 0                                       // 000000002F4C: 7E940280
	v_mov_b32_e32 v75, 0                                       // 000000002F50: 7E960280
	v_mov_b32_e32 v76, 0                                       // 000000002F54: 7E980280
	v_mov_b32_e32 v77, 0                                       // 000000002F58: 7E9A0280
	v_mov_b32_e32 v78, 0                                       // 000000002F5C: 7E9C0280
	v_mov_b32_e32 v79, 0                                       // 000000002F60: 7E9E0280
	v_mov_b32_e32 v80, 0                                       // 000000002F64: 7EA00280
	v_mov_b32_e32 v81, 0                                       // 000000002F68: 7EA20280
	v_mov_b32_e32 v82, 0                                       // 000000002F6C: 7EA40280
	v_mov_b32_e32 v83, 0                                       // 000000002F70: 7EA60280
	v_mov_b32_e32 v84, 0                                       // 000000002F74: 7EA80280
	v_mov_b32_e32 v85, 0                                       // 000000002F78: 7EAA0280
	v_mov_b32_e32 v86, 0                                       // 000000002F7C: 7EAC0280
	v_mov_b32_e32 v87, 0                                       // 000000002F80: 7EAE0280
	v_mov_b32_e32 v88, 0                                       // 000000002F84: 7EB00280
	v_mov_b32_e32 v89, 0                                       // 000000002F88: 7EB20280
	v_mov_b32_e32 v90, 0                                       // 000000002F8C: 7EB40280
	v_mov_b32_e32 v91, 0                                       // 000000002F90: 7EB60280
	v_mov_b32_e32 v92, 0                                       // 000000002F94: 7EB80280
	v_mov_b32_e32 v93, 0                                       // 000000002F98: 7EBA0280
	v_mov_b32_e32 v94, 0                                       // 000000002F9C: 7EBC0280
	v_mov_b32_e32 v95, 0                                       // 000000002FA0: 7EBE0280
	v_mov_b32_e32 v96, 0                                       // 000000002FA4: 7EC00280
	v_mov_b32_e32 v97, 0                                       // 000000002FA8: 7EC20280
	v_mov_b32_e32 v98, 0                                       // 000000002FAC: 7EC40280
	v_mov_b32_e32 v99, 0                                       // 000000002FB0: 7EC60280
	v_mov_b32_e32 v100, 0                                      // 000000002FB4: 7EC80280
	v_mov_b32_e32 v101, 0                                      // 000000002FB8: 7ECA0280
	v_mov_b32_e32 v102, 0                                      // 000000002FBC: 7ECC0280
	v_mov_b32_e32 v103, 0                                      // 000000002FC0: 7ECE0280
	v_mov_b32_e32 v104, 0                                      // 000000002FC4: 7ED00280
	v_mov_b32_e32 v105, 0                                      // 000000002FC8: 7ED20280
	v_mov_b32_e32 v106, 0                                      // 000000002FCC: 7ED40280
	v_mov_b32_e32 v107, 0                                      // 000000002FD0: 7ED60280
	v_mov_b32_e32 v108, 0                                      // 000000002FD4: 7ED80280
	v_mov_b32_e32 v109, 0                                      // 000000002FD8: 7EDA0280
	v_mov_b32_e32 v110, 0                                      // 000000002FDC: 7EDC0280
	v_mov_b32_e32 v111, 0                                      // 000000002FE0: 7EDE0280
	v_mov_b32_e32 v112, 0                                      // 000000002FE4: 7EE00280
	v_mov_b32_e32 v113, 0                                      // 000000002FE8: 7EE20280
	v_mov_b32_e32 v114, 0                                      // 000000002FEC: 7EE40280
	v_mov_b32_e32 v115, 0                                      // 000000002FF0: 7EE60280
	v_mov_b32_e32 v116, 0                                      // 000000002FF4: 7EE80280
	v_mov_b32_e32 v117, 0                                      // 000000002FF8: 7EEA0280
	v_mov_b32_e32 v118, 0                                      // 000000002FFC: 7EEC0280
	v_mov_b32_e32 v119, 0                                      // 000000003000: 7EEE0280
	v_mov_b32_e32 v120, 0                                      // 000000003004: 7EF00280
	v_mov_b32_e32 v121, 0                                      // 000000003008: 7EF20280
	v_mov_b32_e32 v122, 0                                      // 00000000300C: 7EF40280
	v_mov_b32_e32 v123, 0                                      // 000000003010: 7EF60280
	v_mov_b32_e32 v124, 0                                      // 000000003014: 7EF80280
	v_mov_b32_e32 v125, 0                                      // 000000003018: 7EFA0280
	v_mov_b32_e32 v126, 0                                      // 00000000301C: 7EFC0280
	v_mov_b32_e32 v127, 0                                      // 000000003020: 7EFE0280
	v_mov_b32_e32 v128, 0                                      // 000000003024: 7F000280
	v_mov_b32_e32 v129, 0                                      // 000000003028: 7F020280
	v_mov_b32_e32 v130, 0                                      // 00000000302C: 7F040280
	v_mov_b32_e32 v131, 0                                      // 000000003030: 7F060280
	v_mov_b32_e32 v132, 0                                      // 000000003034: 7F080280
	v_mov_b32_e32 v133, 0                                      // 000000003038: 7F0A0280
	v_mov_b32_e32 v134, 0                                      // 00000000303C: 7F0C0280
	v_mov_b32_e32 v135, 0                                      // 000000003040: 7F0E0280
	v_mov_b32_e32 v136, 0                                      // 000000003044: 7F100280
	v_mov_b32_e32 v137, 0                                      // 000000003048: 7F120280
	v_mov_b32_e32 v138, 0                                      // 00000000304C: 7F140280
	v_mov_b32_e32 v139, 0                                      // 000000003050: 7F160280
	v_mov_b32_e32 v140, 0                                      // 000000003054: 7F180280
	v_mov_b32_e32 v141, 0                                      // 000000003058: 7F1A0280
	v_mov_b32_e32 v142, 0                                      // 00000000305C: 7F1C0280
	v_mov_b32_e32 v143, 0                                      // 000000003060: 7F1E0280
	v_mov_b32_e32 v144, 0                                      // 000000003064: 7F200280
	v_mov_b32_e32 v145, 0                                      // 000000003068: 7F220280
	v_mov_b32_e32 v146, 0                                      // 00000000306C: 7F240280
	v_mov_b32_e32 v147, 0                                      // 000000003070: 7F260280
	v_mov_b32_e32 v148, 0                                      // 000000003074: 7F280280
	v_mov_b32_e32 v149, 0                                      // 000000003078: 7F2A0280
	v_mov_b32_e32 v150, 0                                      // 00000000307C: 7F2C0280
	v_mov_b32_e32 v151, 0                                      // 000000003080: 7F2E0280
	v_mov_b32_e32 v152, 0                                      // 000000003084: 7F300280
	v_mov_b32_e32 v153, 0                                      // 000000003088: 7F320280
	v_mov_b32_e32 v154, 0                                      // 00000000308C: 7F340280
	v_mov_b32_e32 v155, 0                                      // 000000003090: 7F360280
	v_mov_b32_e32 v156, 0                                      // 000000003094: 7F380280
	v_mov_b32_e32 v157, 0                                      // 000000003098: 7F3A0280
	v_mov_b32_e32 v158, 0                                      // 00000000309C: 7F3C0280
	v_mov_b32_e32 v159, 0                                      // 0000000030A0: 7F3E0280
	v_mov_b32_e32 v160, 0                                      // 0000000030A4: 7F400280
	v_mov_b32_e32 v161, 0                                      // 0000000030A8: 7F420280
	v_mov_b32_e32 v162, 0                                      // 0000000030AC: 7F440280
	v_mov_b32_e32 v163, 0                                      // 0000000030B0: 7F460280
	v_mov_b32_e32 v164, 0                                      // 0000000030B4: 7F480280
	v_mov_b32_e32 v165, 0                                      // 0000000030B8: 7F4A0280
	v_mov_b32_e32 v166, 0                                      // 0000000030BC: 7F4C0280
	v_mov_b32_e32 v167, 0                                      // 0000000030C0: 7F4E0280
	v_lshrrev_b32_e32 v20, 4, v0                               // 0000000030C4: 20280084
	v_mul_i32_i24_e32 v21, 4, v20                              // 0000000030C8: 0C2A2884
	v_and_b32_e32 v20, 15, v0                                  // 0000000030CC: 2628008F
	v_and_b32_e32 v22, 3, v20                                  // 0000000030D0: 262C2883
	v_mul_i32_i24_e32 v22, 0x488, v22                          // 0000000030D4: 0C2C2CFF 00000488
	v_add_u32_e32 v4, v22, v21                                 // 0000000030DC: 68082B16
	v_lshrrev_b32_e32 v20, 2, v20                              // 0000000030E0: 20282882
	v_and_b32_e32 v21, 1, v20                                  // 0000000030E4: 262A2881
	v_mul_i32_i24_e32 v21, 32, v21                             // 0000000030E8: 0C2A2AA0
	v_add_u32_e32 v4, v4, v21                                  // 0000000030EC: 68082B04
	v_and_b32_e32 v21, 2, v20                                  // 0000000030F0: 262A2882
	v_mul_i32_i24_e32 v21, 0x120, v21                          // 0000000030F4: 0C2A2AFF 00000120
	v_add_u32_e32 v4, v4, v21                                  // 0000000030FC: 68082B04
	v_lshlrev_b32_e32 v4, 2, v4                                // 000000003100: 24080882
	v_lshrrev_b32_e32 v20, 4, v0                               // 000000003104: 20280084
	v_and_b32_e32 v21, 1, v20                                  // 000000003108: 262A2881
	v_mul_i32_i24_e32 v5, 32, v21                              // 00000000310C: 0C0A2AA0
	v_and_b32_e32 v21, 2, v20                                  // 000000003110: 262A2882
	v_mul_i32_i24_e32 v21, 0x120, v21                          // 000000003114: 0C2A2AFF 00000120
	v_add_u32_e32 v5, v5, v21                                  // 00000000311C: 680A2B05
	v_and_b32_e32 v20, 15, v0                                  // 000000003120: 2628008F
	v_mul_i32_i24_e32 v21, 2, v20                              // 000000003124: 0C2A2882
	v_add_u32_e32 v5, v5, v21                                  // 000000003128: 680A2B05
	s_mul_i32 s56, 64, s7                                      // 00000000312C: 923807C0
	v_add_u32_e64 v5, v5, s56                                  // 000000003130: D1340005 00007105
	v_lshlrev_b32_e32 v5, 2, v5                                // 000000003138: 240A0A82
	v_lshlrev_b32_e32 v6, 2, v0                                // 00000000313C: 240C0082
	s_mul_i32 s56, 0x200, s7                                   // 000000003140: 923807FF 00000200
	v_add_u32_e64 v6, v6, s56                                  // 000000003148: D1340006 00007106
	v_lshlrev_b32_e32 v6, 2, v6                                // 000000003150: 240C0C82
	v_lshlrev_b32_e32 v7, 4, v0                                // 000000003154: 240E0084
	v_mul_u32_u24_dpp v18, v11, v9 row_newbcast:0 row_mask:0xf bank_mask:0xf// 000000003158: 102412FA FF01500B
	v_mul_u32_u24_dpp v19, v11, v9 row_newbcast:8 row_mask:0xf bank_mask:0xf// 000000003160: 102612FA FF01580B
	v_add_u32_e32 v18, v18, v1                                 // 000000003168: 68240312
	v_add_u32_e32 v19, v19, v1                                 // 00000000316C: 68260313
	s_mov_b32 m0, s36                                          // 000000003170: BEFC0024
	buffer_load_dword v11, v8, s[24:27], 0 offen               // 000000003174: E0501000 80060B08
	v_add_u32_e32 v8, s73, v8                                  // 00000000317C: 68101049
	buffer_load_dword v18, s[20:23], 0 offen lds               // 000000003180: E0511000 80050012
	s_add_u32 m0, 0, s37                                       // 000000003188: 807C2580
	buffer_load_dword v19, s[20:23], 0 offen lds               // 00000000318C: E0511000 80050013
	s_add_u32 m0, 0x80, s36                                    // 000000003194: 807C24FF 00000080
	buffer_load_dword v18, s[20:23], 0 offen offset:128 lds    // 00000000319C: E0511080 80050012
	s_add_u32 m0, 0x80, s37                                    // 0000000031A4: 807C25FF 00000080
	buffer_load_dword v19, s[20:23], 0 offen offset:128 lds    // 0000000031AC: E0511080 80050013
	s_add_u32 m0, 0x100, s36                                   // 0000000031B4: 807C24FF 00000100
	buffer_load_dword v18, s[20:23], 0 offen offset:256 lds    // 0000000031BC: E0511100 80050012
	s_add_u32 m0, 0x100, s37                                   // 0000000031C4: 807C25FF 00000100
	buffer_load_dword v19, s[20:23], 0 offen offset:256 lds    // 0000000031CC: E0511100 80050013
	s_add_u32 m0, 0x180, s36                                   // 0000000031D4: 807C24FF 00000180
	buffer_load_dword v18, s[20:23], 0 offen offset:384 lds    // 0000000031DC: E0511180 80050012
	s_add_u32 m0, 0x180, s37                                   // 0000000031E4: 807C25FF 00000180
	buffer_load_dword v19, s[20:23], 0 offen offset:384 lds    // 0000000031EC: E0511180 80050013
	s_add_u32 m0, 0x200, s36                                   // 0000000031F4: 807C24FF 00000200
	buffer_load_dword v18, s[20:23], 0 offen offset:512 lds    // 0000000031FC: E0511200 80050012
	s_add_u32 m0, 0x200, s37                                   // 000000003204: 807C25FF 00000200
	buffer_load_dword v19, s[20:23], 0 offen offset:512 lds    // 00000000320C: E0511200 80050013
	s_add_u32 m0, 0x280, s36                                   // 000000003214: 807C24FF 00000280
	buffer_load_dword v18, s[20:23], 0 offen offset:640 lds    // 00000000321C: E0511280 80050012
	s_add_u32 m0, 0x280, s37                                   // 000000003224: 807C25FF 00000280
	buffer_load_dword v19, s[20:23], 0 offen offset:640 lds    // 00000000322C: E0511280 80050013
	s_add_u32 m0, 0x300, s36                                   // 000000003234: 807C24FF 00000300
	buffer_load_dword v18, s[20:23], 0 offen offset:768 lds    // 00000000323C: E0511300 80050012
	s_add_u32 m0, 0x300, s37                                   // 000000003244: 807C25FF 00000300
	buffer_load_dword v19, s[20:23], 0 offen offset:768 lds    // 00000000324C: E0511300 80050013
	s_add_u32 m0, 0x380, s36                                   // 000000003254: 807C24FF 00000380
	buffer_load_dword v18, s[20:23], 0 offen offset:896 lds    // 00000000325C: E0511380 80050012
	s_add_u32 m0, 0x380, s37                                   // 000000003264: 807C25FF 00000380
	buffer_load_dword v19, s[20:23], 0 offen offset:896 lds    // 00000000326C: E0511380 80050013
	s_add_u32 m0, 0x400, s36                                   // 000000003274: 807C24FF 00000400
	buffer_load_dword v18, s[20:23], 0 offen offset:1024 lds   // 00000000327C: E0511400 80050012
	s_add_u32 m0, 0x400, s37                                   // 000000003284: 807C25FF 00000400
	buffer_load_dword v19, s[20:23], 0 offen offset:1024 lds   // 00000000328C: E0511400 80050013
	s_add_u32 m0, 0x480, s36                                   // 000000003294: 807C24FF 00000480
	s_waitcnt vmcnt(19) lgkmcnt(0)                             // 00000000329C: BF8C4073
	s_barrier                                                  // 0000000032A0: BF8A0000
	v_mul_u32_u24_dpp v18, v10, v9 row_newbcast:0 row_mask:0xf bank_mask:0xf// 0000000032A4: 102412FA FF01500A
	v_mul_u32_u24_dpp v19, v10, v9 row_newbcast:8 row_mask:0xf bank_mask:0xf// 0000000032AC: 102612FA FF01580A
	v_add_u32_e32 v18, v18, v1                                 // 0000000032B4: 68240312
	v_add_u32_e32 v19, v19, v1                                 // 0000000032B8: 68260313
	s_mov_b32 m0, s34                                          // 0000000032BC: BEFC0022
	ds_read_b128 a[144:147], v4                                // 0000000032C0: DBFE0000 90000004
	ds_read_b128 a[148:151], v4 offset:64                      // 0000000032C8: DBFE0040 94000004
	ds_read_b128 a[152:155], v4 offset:256                     // 0000000032D0: DBFE0100 98000004
	ds_read_b128 a[156:159], v4 offset:320                     // 0000000032D8: DBFE0140 9C000004
	ds_read_b128 a[160:163], v4 offset:512                     // 0000000032E0: DBFE0200 A0000004
	ds_read_b128 a[164:167], v4 offset:576                     // 0000000032E8: DBFE0240 A4000004
	ds_read_b128 a[168:171], v4 offset:768                     // 0000000032F0: DBFE0300 A8000004
	ds_read_b128 a[172:175], v4 offset:832                     // 0000000032F8: DBFE0340 AC000004
	ds_read_b128 a[176:179], v4 offset:1024                    // 000000003300: DBFE0400 B0000004
	ds_read_b128 a[180:183], v4 offset:1088                    // 000000003308: DBFE0440 B4000004
	ds_read_b128 a[184:187], v4 offset:1280                    // 000000003310: DBFE0500 B8000004
	ds_read_b128 a[188:191], v4 offset:1344                    // 000000003318: DBFE0540 BC000004
	ds_read_b128 a[192:195], v4 offset:1536                    // 000000003320: DBFE0600 C0000004
	ds_read_b128 a[196:199], v4 offset:1600                    // 000000003328: DBFE0640 C4000004
	ds_read_b128 a[200:203], v4 offset:1792                    // 000000003330: DBFE0700 C8000004
	ds_read_b128 a[204:207], v4 offset:1856                    // 000000003338: DBFE0740 CC000004
	ds_read_b128 a[208:211], v4 offset:2048                    // 000000003340: DBFE0800 D0000004
	ds_read_b128 a[212:215], v4 offset:2112                    // 000000003348: DBFE0840 D4000004
	ds_read_b64 v[20:21], v5                                   // 000000003350: D8EC0000 14000005
	ds_read_b64 v[22:23], v5 offset:4640                       // 000000003358: D8EC1220 16000005
	ds_read_b64 v[24:25], v5 offset:9280                       // 000000003360: D8EC2440 18000005
	ds_read_b64 v[26:27], v5 offset:13920                      // 000000003368: D8EC3660 1A000005
	s_waitcnt lgkmcnt(0)                                       // 000000003370: BF8CC07F
	v_perm_b32 v168, v22, v20, s53                             // 000000003374: D1ED00A8 00D62916
	v_perm_b32 v170, v22, v20, s52                             // 00000000337C: D1ED00AA 00D22916
	v_perm_b32 v169, v26, v24, s53                             // 000000003384: D1ED00A9 00D6311A
	v_perm_b32 v171, v26, v24, s52                             // 00000000338C: D1ED00AB 00D2311A
	ds_write_b128 v6, v[168:171] offset:37120                  // 000000003394: D9BE9100 0000A806
	v_perm_b32 v168, v23, v21, s53                             // 00000000339C: D1ED00A8 00D62B17
	v_perm_b32 v170, v23, v21, s52                             // 0000000033A4: D1ED00AA 00D22B17
	v_perm_b32 v169, v27, v25, s53                             // 0000000033AC: D1ED00A9 00D6331B
	v_perm_b32 v171, v27, v25, s52                             // 0000000033B4: D1ED00AB 00D2331B
	ds_write_b128 v6, v[168:171] offset:38144                  // 0000000033BC: D9BE9500 0000A806
	ds_read_b64 v[20:21], v5 offset:1024                       // 0000000033C4: D8EC0400 14000005
	ds_read_b64 v[22:23], v5 offset:5664                       // 0000000033CC: D8EC1620 16000005
	ds_read_b64 v[24:25], v5 offset:10304                      // 0000000033D4: D8EC2840 18000005
	ds_read_b64 v[26:27], v5 offset:14944                      // 0000000033DC: D8EC3A60 1A000005
	s_waitcnt lgkmcnt(0)                                       // 0000000033E4: BF8CC07F
	v_perm_b32 v168, v22, v20, s53                             // 0000000033E8: D1ED00A8 00D62916
	v_perm_b32 v170, v22, v20, s52                             // 0000000033F0: D1ED00AA 00D22916
	v_perm_b32 v169, v26, v24, s53                             // 0000000033F8: D1ED00A9 00D6311A
	v_perm_b32 v171, v26, v24, s52                             // 000000003400: D1ED00AB 00D2311A
	ds_write_b128 v6, v[168:171] offset:45312                  // 000000003408: D9BEB100 0000A806
	v_perm_b32 v168, v23, v21, s53                             // 000000003410: D1ED00A8 00D62B17
	v_perm_b32 v170, v23, v21, s52                             // 000000003418: D1ED00AA 00D22B17
	v_perm_b32 v169, v27, v25, s53                             // 000000003420: D1ED00A9 00D6331B
	v_perm_b32 v171, v27, v25, s52                             // 000000003428: D1ED00AB 00D2331B
	ds_write_b128 v6, v[168:171] offset:46336                  // 000000003430: D9BEB500 0000A806
	s_cmp_lt_u32 s71, 1                                        // 000000003438: BF0A8147
	s_cbranch_scc1 label_0D49                                  // 00000000343C: BF8508F9
	s_cmp_lt_i32 s7, 2                                         // 000000003440: BF048207
	s_cbranch_scc0 label_08CE                                  // 000000003444: BF84047C

0000000000003448 <label_0452>:
	s_waitcnt lgkmcnt(4)                                       // 000000003448: BF8CC47F
	v_mfma_f32_16x16x16_bf16 v[32:35], a[144:145], a[0:1], 0   // 00000000344C: D3E10020 1A020190
	ds_read_b128 a[176:179], v4 offset:1024                    // 000000003454: DBFE0400 B0000004
	ds_read_b128 a[180:183], v4 offset:1088                    // 00000000345C: DBFE0440 B4000004
	v_mfma_f32_16x16x16_bf16 v[32:35], a[146:147], a[2:3], v[32:35]// 000000003464: D3E10020 1C820592
	buffer_load_dword v10, v8, s[24:27], 0 offen               // 00000000346C: E0501000 80060A08
	v_mfma_f32_16x16x16_bf16 v[32:35], a[148:149], a[4:5], v[32:35]// 000000003474: D3E10020 1C820994
	v_mfma_f32_16x16x16_bf16 v[32:35], a[150:151], a[6:7], v[32:35]// 00000000347C: D3E10020 1C820D96
	v_mfma_f32_16x16x16_bf16 v[32:35], a[152:153], a[8:9], v[32:35]// 000000003484: D3E10020 1C821198
	ds_read_b128 a[184:187], v4 offset:1280                    // 00000000348C: DBFE0500 B8000004
	ds_read_b128 a[188:191], v4 offset:1344                    // 000000003494: DBFE0540 BC000004
	v_mfma_f32_16x16x16_bf16 v[32:35], a[154:155], a[10:11], v[32:35]// 00000000349C: D3E10020 1C82159A
	v_mfma_f32_16x16x16_bf16 v[32:35], a[156:157], a[12:13], v[32:35]// 0000000034A4: D3E10020 1C82199C
	v_mfma_f32_16x16x16_bf16 v[32:35], a[158:159], a[14:15], v[32:35]// 0000000034AC: D3E10020 1C821D9E
	s_waitcnt lgkmcnt(4)                                       // 0000000034B4: BF8CC47F
	v_mfma_f32_16x16x16_bf16 v[32:35], a[160:161], a[16:17], v[32:35]// 0000000034B8: D3E10020 1C8221A0
	ds_read_b128 a[192:195], v4 offset:1536                    // 0000000034C0: DBFE0600 C0000004
	ds_read_b128 a[196:199], v4 offset:1600                    // 0000000034C8: DBFE0640 C4000004
	v_mfma_f32_16x16x16_bf16 v[32:35], a[162:163], a[18:19], v[32:35]// 0000000034D0: D3E10020 1C8225A2
	v_mfma_f32_16x16x16_bf16 v[32:35], a[164:165], a[20:21], v[32:35]// 0000000034D8: D3E10020 1C8229A4
	v_mfma_f32_16x16x16_bf16 v[32:35], a[166:167], a[22:23], v[32:35]// 0000000034E0: D3E10020 1C822DA6
	v_mfma_f32_16x16x16_bf16 v[32:35], a[168:169], a[24:25], v[32:35]// 0000000034E8: D3E10020 1C8231A8
	ds_read_b128 a[200:203], v4 offset:1792                    // 0000000034F0: DBFE0700 C8000004
	ds_read_b128 a[204:207], v4 offset:1856                    // 0000000034F8: DBFE0740 CC000004
	v_mfma_f32_16x16x16_bf16 v[32:35], a[170:171], a[26:27], v[32:35]// 000000003500: D3E10020 1C8235AA
	v_mfma_f32_16x16x16_bf16 v[32:35], a[172:173], a[28:29], v[32:35]// 000000003508: D3E10020 1C8239AC
	v_mfma_f32_16x16x16_bf16 v[32:35], a[174:175], a[30:31], v[32:35]// 000000003510: D3E10020 1C823DAE
	s_waitcnt lgkmcnt(4)                                       // 000000003518: BF8CC47F
	s_barrier                                                  // 00000000351C: BF8A0000
	v_mfma_f32_16x16x16_bf16 v[32:35], a[176:177], a[32:33], v[32:35]// 000000003520: D3E10020 1C8241B0
	ds_read_b128 a[208:211], v4 offset:2048                    // 000000003528: DBFE0800 D0000004
	ds_read_b128 a[212:215], v4 offset:2112                    // 000000003530: DBFE0840 D4000004
	v_mfma_f32_16x16x16_bf16 v[32:35], a[178:179], a[34:35], v[32:35]// 000000003538: D3E10020 1C8245B2
	v_mfma_f32_16x16x16_bf16 v[32:35], a[180:181], a[36:37], v[32:35]// 000000003540: D3E10020 1C8249B4
	v_perm_b32 v168, v22, v20, s53                             // 000000003548: D1ED00A8 00D62916
	v_perm_b32 v170, v22, v20, s52                             // 000000003550: D1ED00AA 00D22916
	v_perm_b32 v169, v26, v24, s53                             // 000000003558: D1ED00A9 00D6311A
	v_perm_b32 v171, v26, v24, s52                             // 000000003560: D1ED00AB 00D2311A
	v_mfma_f32_16x16x16_bf16 v[32:35], a[182:183], a[38:39], v[32:35]// 000000003568: D3E10020 1C824DB6
	buffer_load_dword v18, s[20:23], 0 offen lds               // 000000003570: E0511000 80050012
	s_add_u32 m0, 0, s35                                       // 000000003578: 807C2380
	v_mfma_f32_16x16x16_bf16 v[32:35], a[184:185], a[40:41], v[32:35]// 00000000357C: D3E10020 1C8251B8
	ds_write_b128 v6, v[168:171] offset:45312                  // 000000003584: D9BEB100 0000A806
	v_mfma_f32_16x16x16_bf16 v[32:35], a[186:187], a[42:43], v[32:35]// 00000000358C: D3E10020 1C8255BA
	buffer_load_dword v19, s[20:23], 0 offen lds               // 000000003594: E0511000 80050013
	s_add_u32 m0, 0x80, s34                                    // 00000000359C: 807C22FF 00000080
	v_mfma_f32_16x16x16_bf16 v[32:35], a[188:189], a[44:45], v[32:35]// 0000000035A4: D3E10020 1C8259BC
	v_perm_b32 v168, v23, v21, s53                             // 0000000035AC: D1ED00A8 00D62B17
	v_perm_b32 v170, v23, v21, s52                             // 0000000035B4: D1ED00AA 00D22B17
	v_perm_b32 v169, v27, v25, s53                             // 0000000035BC: D1ED00A9 00D6331B
	v_perm_b32 v171, v27, v25, s52                             // 0000000035C4: D1ED00AB 00D2331B
	v_mfma_f32_16x16x16_bf16 v[32:35], a[190:191], a[46:47], v[32:35]// 0000000035CC: D3E10020 1C825DBE
	buffer_load_dword v18, s[20:23], 0 offen offset:128 lds    // 0000000035D4: E0511080 80050012
	s_add_u32 m0, 0x80, s35                                    // 0000000035DC: 807C23FF 00000080
	s_waitcnt lgkmcnt(1)                                       // 0000000035E4: BF8CC17F
	v_mfma_f32_16x16x16_bf16 v[32:35], a[192:193], a[48:49], v[32:35]// 0000000035E8: D3E10020 1C8261C0
	ds_write_b128 v6, v[168:171] offset:46336                  // 0000000035F0: D9BEB500 0000A806
	v_mfma_f32_16x16x16_bf16 v[32:35], a[194:195], a[50:51], v[32:35]// 0000000035F8: D3E10020 1C8265C2
	buffer_load_dword v19, s[20:23], 0 offen offset:128 lds    // 000000003600: E0511080 80050013
	s_add_u32 m0, 0x100, s34                                   // 000000003608: 807C22FF 00000100
	v_mfma_f32_16x16x16_bf16 v[32:35], a[196:197], a[52:53], v[32:35]// 000000003610: D3E10020 1C8269C4
	v_mfma_f32_16x16x16_bf16 v[32:35], a[198:199], a[54:55], v[32:35]// 000000003618: D3E10020 1C826DC6
	buffer_load_dword v18, s[20:23], 0 offen offset:256 lds    // 000000003620: E0511100 80050012
	s_add_u32 m0, 0x100, s35                                   // 000000003628: 807C23FF 00000100
	v_mfma_f32_16x16x16_bf16 v[32:35], a[200:201], a[56:57], v[32:35]// 000000003630: D3E10020 1C8271C8
	v_mfma_f32_16x16x16_bf16 v[32:35], a[202:203], a[58:59], v[32:35]// 000000003638: D3E10020 1C8275CA
	buffer_load_dword v19, s[20:23], 0 offen offset:256 lds    // 000000003640: E0511100 80050013
	s_add_u32 m0, 0x180, s34                                   // 000000003648: 807C22FF 00000180
	v_mfma_f32_16x16x16_bf16 v[32:35], a[204:205], a[60:61], v[32:35]// 000000003650: D3E10020 1C8279CC
	v_mfma_f32_16x16x16_bf16 v[32:35], a[206:207], a[62:63], v[32:35]// 000000003658: D3E10020 1C827DCE
	buffer_load_dword v18, s[20:23], 0 offen offset:384 lds    // 000000003660: E0511180 80050012
	s_add_u32 m0, 0x180, s35                                   // 000000003668: 807C23FF 00000180
	v_mfma_f32_16x16x16_bf16 v[32:35], a[208:209], a[64:65], v[32:35]// 000000003670: D3E10020 1C8281D0
	v_mfma_f32_16x16x16_bf16 v[32:35], a[210:211], a[66:67], v[32:35]// 000000003678: D3E10020 1C8285D2
	buffer_load_dword v19, s[20:23], 0 offen offset:384 lds    // 000000003680: E0511180 80050013
	s_add_u32 m0, 0x200, s34                                   // 000000003688: 807C22FF 00000200
	v_mfma_f32_16x16x16_bf16 v[32:35], a[212:213], a[68:69], v[32:35]// 000000003690: D3E10020 1C8289D4
	v_mfma_f32_16x16x16_bf16 v[32:35], a[214:215], a[70:71], v[32:35]// 000000003698: D3E10020 1C828DD6
	buffer_load_dword v18, s[20:23], 0 offen offset:512 lds    // 0000000036A0: E0511200 80050012
	s_add_u32 m0, 0x200, s35                                   // 0000000036A8: 807C23FF 00000200
	v_add_u32_e32 v8, s73, v8                                  // 0000000036B0: 68101049
	s_waitcnt lgkmcnt(0)                                       // 0000000036B4: BF8CC07F
	s_barrier                                                  // 0000000036B8: BF8A0000
	v_max3_f32 v24, v32, v33, v32                              // 0000000036BC: D1D30018 04824320
	v_max3_f32 v24, v34, v35, v24                              // 0000000036C4: D1D30018 04624722
	ds_write_b32 v3, v24 offset:53504                          // 0000000036CC: D81AD100 00001803
	buffer_load_dword v19, s[20:23], 0 offen offset:512 lds    // 0000000036D4: E0511200 80050013
	s_add_u32 m0, 0x280, s34                                   // 0000000036DC: 807C22FF 00000280
	buffer_load_dword v18, s[20:23], 0 offen offset:640 lds    // 0000000036E4: E0511280 80050012
	s_add_u32 m0, 0x280, s35                                   // 0000000036EC: 807C23FF 00000280
	s_waitcnt lgkmcnt(0)                                       // 0000000036F4: BF8CC07F
	ds_read_b32 v20, v2 offset:53504                           // 0000000036F8: D86CD100 14000002
	ds_read_b32 v21, v2 offset:53568                           // 000000003700: D86CD140 15000002
	ds_read_b32 v22, v2 offset:53632                           // 000000003708: D86CD180 16000002
	ds_read_b32 v23, v2 offset:53696                           // 000000003710: D86CD1C0 17000002
	buffer_load_dword v19, s[20:23], 0 offen offset:640 lds    // 000000003718: E0511280 80050013
	s_add_u32 m0, 0x300, s34                                   // 000000003720: 807C22FF 00000300
	buffer_load_dword v18, s[20:23], 0 offen offset:768 lds    // 000000003728: E0511300 80050012
	s_add_u32 m0, 0x300, s35                                   // 000000003730: 807C23FF 00000300
	buffer_load_dword v19, s[20:23], 0 offen offset:768 lds    // 000000003738: E0511300 80050013
	s_add_u32 m0, 0x380, s34                                   // 000000003740: 807C22FF 00000380
	s_waitcnt lgkmcnt(0)                                       // 000000003748: BF8CC07F
	v_max3_f32 v24, v20, v21, v24                              // 00000000374C: D1D30018 04622B14
	v_max3_f32 v24, v22, v23, v24                              // 000000003754: D1D30018 04622F16
	buffer_load_dword v18, s[20:23], 0 offen offset:896 lds    // 00000000375C: E0511380 80050012
	s_add_u32 m0, 0x380, s35                                   // 000000003764: 807C23FF 00000380
	buffer_load_dword v19, s[20:23], 0 offen offset:896 lds    // 00000000376C: E0511380 80050013
	s_add_u32 m0, 0x400, s34                                   // 000000003774: 807C22FF 00000400
	ds_read_b128 a[144:147], v7 offset:37120                   // 00000000377C: DBFE9100 90000007
	ds_read_b128 a[148:151], v7 offset:38144                   // 000000003784: DBFE9500 94000007
	buffer_load_dword v18, s[20:23], 0 offen offset:1024 lds   // 00000000378C: E0511400 80050012
	s_add_u32 m0, 0x400, s35                                   // 000000003794: 807C23FF 00000400
	ds_read_b128 a[152:155], v7 offset:39168                   // 00000000379C: DBFE9900 98000007
	ds_read_b128 a[156:159], v7 offset:40192                   // 0000000037A4: DBFE9D00 9C000007
	buffer_load_dword v19, s[20:23], 0 offen offset:1024 lds   // 0000000037AC: E0511400 80050013
	s_add_u32 m0, 0x480, s34                                   // 0000000037B4: 807C22FF 00000480
	ds_read_b128 a[160:163], v7 offset:41216                   // 0000000037BC: DBFEA100 A0000007
	ds_read_b128 a[164:167], v7 offset:42240                   // 0000000037C4: DBFEA500 A4000007
	ds_read_b128 a[168:171], v7 offset:43264                   // 0000000037CC: DBFEA900 A8000007
	ds_read_b128 a[172:175], v7 offset:44288                   // 0000000037D4: DBFEAD00 AC000007
	v_mov_b32_e32 v25, 0xff7fffff                              // 0000000037DC: 7E3202FF FF7FFFFF
	v_cmp_eq_u32_e64 s[38:39], v25, v12                        // 0000000037E4: D0CA0026 00021919
	v_max_f32_e32 v20, v24, v12                                // 0000000037EC: 16281918
	v_sub_f32_e32 v16, v12, v20                                // 0000000037F0: 0420290C
	v_cndmask_b32_e64 v16, v16, 0, s[38:39]                    // 0000000037F4: D1000010 00990110
	v_mov_b32_e32 v12, v20                                     // 0000000037FC: 7E180314
	v_mul_f32_e32 v21, s5, v20                                 // 000000003800: 0A2A2805
	v_mul_f32_e32 v16, s5, v16                                 // 000000003804: 0A202005
	v_exp_f32_e32 v16, v16                                     // 000000003808: 7E204110
	v_fma_f32 v32, v32, s5, -v21                               // 00000000380C: D1CB0020 84540B20
	v_fma_f32 v33, v33, s5, -v21                               // 000000003814: D1CB0021 84540B21
	v_fma_f32 v34, v34, s5, -v21                               // 00000000381C: D1CB0022 84540B22
	v_fma_f32 v35, v35, s5, -v21                               // 000000003824: D1CB0023 84540B23
	v_exp_f32_e32 v32, v32                                     // 00000000382C: 7E404120
	v_exp_f32_e32 v33, v33                                     // 000000003830: 7E424121
	v_exp_f32_e32 v34, v34                                     // 000000003834: 7E444122
	v_exp_f32_e32 v35, v35                                     // 000000003838: 7E464123
	v_mul_f32_e32 v14, v16, v14                                // 00000000383C: 0A1C1D10
	v_mov_b32_e32 v22, v32                                     // 000000003840: 7E2C0320
	v_add_f32_e32 v22, v33, v22                                // 000000003844: 022C2D21
	v_add_f32_e32 v22, v34, v22                                // 000000003848: 022C2D22
	v_add_f32_e32 v22, v35, v22                                // 00000000384C: 022C2D23
	v_add_f32_e32 v14, v22, v14                                // 000000003850: 021C1D16
	v_mov_b32_e32 v29, 0xffff0000                              // 000000003854: 7E3A02FF FFFF0000
	v_mov_b32_e32 v30, 0x7fff0000                              // 00000000385C: 7E3C02FF 7FFF0000
	v_mov_b32_e32 v31, 0x7fff                                  // 000000003864: 7E3E02FF 00007FFF
	v_cmp_u_f32_e64 s[38:39], v32, v32                         // 00000000386C: D0480026 00024120
	v_add3_u32 v28, v32, v31, 1                                // 000000003874: D1FF001C 02063F20
	v_cndmask_b32_e64 v20, v28, v30, s[38:39]                  // 00000000387C: D1000014 009A3D1C
	v_cmp_u_f32_e64 s[38:39], v33, v33                         // 000000003884: D0480026 00024321
	v_add3_u32 v28, v33, v31, 1                                // 00000000388C: D1FF001C 02063F21
	v_cndmask_b32_e64 v21, v28, v30, s[38:39]                  // 000000003894: D1000015 009A3D1C
	v_perm_b32 v32, v21, v20, s52                              // 00000000389C: D1ED0020 00D22915
	v_cmp_u_f32_e64 s[38:39], v34, v34                         // 0000000038A4: D0480026 00024522
	v_add3_u32 v28, v34, v31, 1                                // 0000000038AC: D1FF001C 02063F22
	v_cndmask_b32_e64 v20, v28, v30, s[38:39]                  // 0000000038B4: D1000014 009A3D1C
	v_cmp_u_f32_e64 s[38:39], v35, v35                         // 0000000038BC: D0480026 00024723
	v_add3_u32 v28, v35, v31, 1                                // 0000000038C4: D1FF001C 02063F23
	v_cndmask_b32_e64 v21, v28, v30, s[38:39]                  // 0000000038CC: D1000015 009A3D1C
	v_perm_b32 v33, v21, v20, s52                              // 0000000038D4: D1ED0021 00D22915
	s_nop 2                                                    // 0000000038DC: BF800002
	v_mul_u32_u24_dpp v18, v11, v9 row_newbcast:0 row_mask:0xf bank_mask:0xf// 0000000038E0: 102412FA FF01500B
	v_mul_u32_u24_dpp v19, v11, v9 row_newbcast:8 row_mask:0xf bank_mask:0xf// 0000000038E8: 102612FA FF01580B
	v_add_u32_e32 v18, v18, v1                                 // 0000000038F0: 68240312
	v_add_u32_e32 v19, v19, v1                                 // 0000000038F4: 68260313
	s_mov_b32 m0, s36                                          // 0000000038F8: BEFC0024
	v_mov_b32_e32 v22, v16                                     // 0000000038FC: 7E2C0310
	v_mov_b32_e32 v23, v16                                     // 000000003900: 7E2E0310
	v_pk_mul_f32 v[40:41], v[22:23], v[40:41]                  // 000000003904: D3B14028 18025116
	v_pk_mul_f32 v[42:43], v[22:23], v[42:43]                  // 00000000390C: D3B1402A 18025516
	v_pk_mul_f32 v[44:45], v[22:23], v[44:45]                  // 000000003914: D3B1402C 18025916
	v_pk_mul_f32 v[46:47], v[22:23], v[46:47]                  // 00000000391C: D3B1402E 18025D16
	v_pk_mul_f32 v[48:49], v[22:23], v[48:49]                  // 000000003924: D3B14030 18026116
	v_pk_mul_f32 v[50:51], v[22:23], v[50:51]                  // 00000000392C: D3B14032 18026516
	v_pk_mul_f32 v[52:53], v[22:23], v[52:53]                  // 000000003934: D3B14034 18026916
	v_pk_mul_f32 v[54:55], v[22:23], v[54:55]                  // 00000000393C: D3B14036 18026D16
	v_pk_mul_f32 v[56:57], v[22:23], v[56:57]                  // 000000003944: D3B14038 18027116
	v_pk_mul_f32 v[58:59], v[22:23], v[58:59]                  // 00000000394C: D3B1403A 18027516
	v_pk_mul_f32 v[60:61], v[22:23], v[60:61]                  // 000000003954: D3B1403C 18027916
	v_pk_mul_f32 v[62:63], v[22:23], v[62:63]                  // 00000000395C: D3B1403E 18027D16
	v_pk_mul_f32 v[64:65], v[22:23], v[64:65]                  // 000000003964: D3B14040 18028116
	v_pk_mul_f32 v[66:67], v[22:23], v[66:67]                  // 00000000396C: D3B14042 18028516
	v_pk_mul_f32 v[68:69], v[22:23], v[68:69]                  // 000000003974: D3B14044 18028916
	v_pk_mul_f32 v[70:71], v[22:23], v[70:71]                  // 00000000397C: D3B14046 18028D16
	v_pk_mul_f32 v[72:73], v[22:23], v[72:73]                  // 000000003984: D3B14048 18029116
	v_pk_mul_f32 v[74:75], v[22:23], v[74:75]                  // 00000000398C: D3B1404A 18029516
	v_pk_mul_f32 v[76:77], v[22:23], v[76:77]                  // 000000003994: D3B1404C 18029916
	v_pk_mul_f32 v[78:79], v[22:23], v[78:79]                  // 00000000399C: D3B1404E 18029D16
	v_pk_mul_f32 v[80:81], v[22:23], v[80:81]                  // 0000000039A4: D3B14050 1802A116
	v_pk_mul_f32 v[82:83], v[22:23], v[82:83]                  // 0000000039AC: D3B14052 1802A516
	v_pk_mul_f32 v[84:85], v[22:23], v[84:85]                  // 0000000039B4: D3B14054 1802A916
	v_pk_mul_f32 v[86:87], v[22:23], v[86:87]                  // 0000000039BC: D3B14056 1802AD16
	v_pk_mul_f32 v[88:89], v[22:23], v[88:89]                  // 0000000039C4: D3B14058 1802B116
	v_pk_mul_f32 v[90:91], v[22:23], v[90:91]                  // 0000000039CC: D3B1405A 1802B516
	v_pk_mul_f32 v[92:93], v[22:23], v[92:93]                  // 0000000039D4: D3B1405C 1802B916
	v_pk_mul_f32 v[94:95], v[22:23], v[94:95]                  // 0000000039DC: D3B1405E 1802BD16
	v_pk_mul_f32 v[96:97], v[22:23], v[96:97]                  // 0000000039E4: D3B14060 1802C116
	v_pk_mul_f32 v[98:99], v[22:23], v[98:99]                  // 0000000039EC: D3B14062 1802C516
	v_pk_mul_f32 v[100:101], v[22:23], v[100:101]              // 0000000039F4: D3B14064 1802C916
	v_pk_mul_f32 v[102:103], v[22:23], v[102:103]              // 0000000039FC: D3B14066 1802CD16
	v_pk_mul_f32 v[104:105], v[22:23], v[104:105]              // 000000003A04: D3B14068 1802D116
	v_pk_mul_f32 v[106:107], v[22:23], v[106:107]              // 000000003A0C: D3B1406A 1802D516
	v_pk_mul_f32 v[108:109], v[22:23], v[108:109]              // 000000003A14: D3B1406C 1802D916
	v_pk_mul_f32 v[110:111], v[22:23], v[110:111]              // 000000003A1C: D3B1406E 1802DD16
	v_pk_mul_f32 v[112:113], v[22:23], v[112:113]              // 000000003A24: D3B14070 1802E116
	v_pk_mul_f32 v[114:115], v[22:23], v[114:115]              // 000000003A2C: D3B14072 1802E516
	v_pk_mul_f32 v[116:117], v[22:23], v[116:117]              // 000000003A34: D3B14074 1802E916
	v_pk_mul_f32 v[118:119], v[22:23], v[118:119]              // 000000003A3C: D3B14076 1802ED16
	v_pk_mul_f32 v[120:121], v[22:23], v[120:121]              // 000000003A44: D3B14078 1802F116
	v_pk_mul_f32 v[122:123], v[22:23], v[122:123]              // 000000003A4C: D3B1407A 1802F516
	v_pk_mul_f32 v[124:125], v[22:23], v[124:125]              // 000000003A54: D3B1407C 1802F916
	v_pk_mul_f32 v[126:127], v[22:23], v[126:127]              // 000000003A5C: D3B1407E 1802FD16
	v_pk_mul_f32 v[128:129], v[22:23], v[128:129]              // 000000003A64: D3B14080 18030116
	v_pk_mul_f32 v[130:131], v[22:23], v[130:131]              // 000000003A6C: D3B14082 18030516
	v_pk_mul_f32 v[132:133], v[22:23], v[132:133]              // 000000003A74: D3B14084 18030916
	v_pk_mul_f32 v[134:135], v[22:23], v[134:135]              // 000000003A7C: D3B14086 18030D16
	v_pk_mul_f32 v[136:137], v[22:23], v[136:137]              // 000000003A84: D3B14088 18031116
	v_pk_mul_f32 v[138:139], v[22:23], v[138:139]              // 000000003A8C: D3B1408A 18031516
	v_pk_mul_f32 v[140:141], v[22:23], v[140:141]              // 000000003A94: D3B1408C 18031916
	v_pk_mul_f32 v[142:143], v[22:23], v[142:143]              // 000000003A9C: D3B1408E 18031D16
	v_pk_mul_f32 v[144:145], v[22:23], v[144:145]              // 000000003AA4: D3B14090 18032116
	v_pk_mul_f32 v[146:147], v[22:23], v[146:147]              // 000000003AAC: D3B14092 18032516
	v_pk_mul_f32 v[148:149], v[22:23], v[148:149]              // 000000003AB4: D3B14094 18032916
	v_pk_mul_f32 v[150:151], v[22:23], v[150:151]              // 000000003ABC: D3B14096 18032D16
	v_pk_mul_f32 v[152:153], v[22:23], v[152:153]              // 000000003AC4: D3B14098 18033116
	v_pk_mul_f32 v[154:155], v[22:23], v[154:155]              // 000000003ACC: D3B1409A 18033516
	v_pk_mul_f32 v[156:157], v[22:23], v[156:157]              // 000000003AD4: D3B1409C 18033916
	v_pk_mul_f32 v[158:159], v[22:23], v[158:159]              // 000000003ADC: D3B1409E 18033D16
	v_pk_mul_f32 v[160:161], v[22:23], v[160:161]              // 000000003AE4: D3B140A0 18034116
	v_pk_mul_f32 v[162:163], v[22:23], v[162:163]              // 000000003AEC: D3B140A2 18034516
	v_pk_mul_f32 v[164:165], v[22:23], v[164:165]              // 000000003AF4: D3B140A4 18034916
	v_pk_mul_f32 v[166:167], v[22:23], v[166:167]              // 000000003AFC: D3B140A6 18034D16
	s_waitcnt lgkmcnt(0)                                       // 000000003B04: BF8CC07F
	v_mfma_f32_16x16x16_bf16 v[40:43], a[144:145], v[32:33], v[40:43]// 000000003B08: D3E10028 0CA24190
	ds_read_b128 a[176:179], v7 offset:45312                   // 000000003B10: DBFEB100 B0000007
	ds_read_b128 a[180:183], v7 offset:46336                   // 000000003B18: DBFEB500 B4000007
	v_mfma_f32_16x16x16_bf16 v[44:47], a[146:147], v[32:33], v[44:47]// 000000003B20: D3E1002C 0CB24192
	v_mfma_f32_16x16x16_bf16 v[48:51], a[148:149], v[32:33], v[48:51]// 000000003B28: D3E10030 0CC24194
	v_mfma_f32_16x16x16_bf16 v[52:55], a[150:151], v[32:33], v[52:55]// 000000003B30: D3E10034 0CD24196
	v_mfma_f32_16x16x16_bf16 v[56:59], a[152:153], v[32:33], v[56:59]// 000000003B38: D3E10038 0CE24198
	ds_read_b128 a[184:187], v7 offset:47360                   // 000000003B40: DBFEB900 B8000007
	ds_read_b128 a[188:191], v7 offset:48384                   // 000000003B48: DBFEBD00 BC000007
	v_mfma_f32_16x16x16_bf16 v[60:63], a[154:155], v[32:33], v[60:63]// 000000003B50: D3E1003C 0CF2419A
	v_mfma_f32_16x16x16_bf16 v[64:67], a[156:157], v[32:33], v[64:67]// 000000003B58: D3E10040 0D02419C
	v_mfma_f32_16x16x16_bf16 v[68:71], a[158:159], v[32:33], v[68:71]// 000000003B60: D3E10044 0D12419E
	v_mfma_f32_16x16x16_bf16 v[72:75], a[160:161], v[32:33], v[72:75]// 000000003B68: D3E10048 0D2241A0
	ds_read_b128 a[192:195], v7 offset:49408                   // 000000003B70: DBFEC100 C0000007
	ds_read_b128 a[196:199], v7 offset:50432                   // 000000003B78: DBFEC500 C4000007
	v_mfma_f32_16x16x16_bf16 v[76:79], a[162:163], v[32:33], v[76:79]// 000000003B80: D3E1004C 0D3241A2
	v_mfma_f32_16x16x16_bf16 v[80:83], a[164:165], v[32:33], v[80:83]// 000000003B88: D3E10050 0D4241A4
	v_mfma_f32_16x16x16_bf16 v[84:87], a[166:167], v[32:33], v[84:87]// 000000003B90: D3E10054 0D5241A6
	v_mfma_f32_16x16x16_bf16 v[88:91], a[168:169], v[32:33], v[88:91]// 000000003B98: D3E10058 0D6241A8
	ds_read_b128 a[200:203], v7 offset:51456                   // 000000003BA0: DBFEC900 C8000007
	ds_read_b128 a[204:207], v7 offset:52480                   // 000000003BA8: DBFECD00 CC000007
	v_mfma_f32_16x16x16_bf16 v[92:95], a[170:171], v[32:33], v[92:95]// 000000003BB0: D3E1005C 0D7241AA
	v_mfma_f32_16x16x16_bf16 v[96:99], a[172:173], v[32:33], v[96:99]// 000000003BB8: D3E10060 0D8241AC
	v_mfma_f32_16x16x16_bf16 v[100:103], a[174:175], v[32:33], v[100:103]// 000000003BC0: D3E10064 0D9241AE
	s_waitcnt lgkmcnt(4)                                       // 000000003BC8: BF8CC47F
	v_mfma_f32_16x16x16_bf16 v[104:107], a[176:177], v[32:33], v[104:107]// 000000003BCC: D3E10068 0DA241B0
	v_mfma_f32_16x16x16_bf16 v[108:111], a[178:179], v[32:33], v[108:111]// 000000003BD4: D3E1006C 0DB241B2
	v_mfma_f32_16x16x16_bf16 v[112:115], a[180:181], v[32:33], v[112:115]// 000000003BDC: D3E10070 0DC241B4
	s_waitcnt vmcnt(18) lgkmcnt(0)                             // 000000003BE4: BF8C4072
	s_barrier                                                  // 000000003BE8: BF8A0000
	v_mfma_f32_16x16x16_bf16 v[116:119], a[182:183], v[32:33], v[116:119]// 000000003BEC: D3E10074 0DD241B6
	ds_read_b64 v[20:21], v5 offset:18560                      // 000000003BF4: D8EC4880 14000005
	ds_read_b64 v[22:23], v5 offset:23200                      // 000000003BFC: D8EC5AA0 16000005
	v_mfma_f32_16x16x16_bf16 v[120:123], a[184:185], v[32:33], v[120:123]// 000000003C04: D3E10078 0DE241B8
	ds_read_b64 v[24:25], v5 offset:27840                      // 000000003C0C: D8EC6CC0 18000005
	ds_read_b64 v[26:27], v5 offset:32480                      // 000000003C14: D8EC7EE0 1A000005
	v_mfma_f32_16x16x16_bf16 v[124:127], a[186:187], v[32:33], v[124:127]// 000000003C1C: D3E1007C 0DF241BA
	ds_read_b128 a[144:147], v4 offset:18560                   // 000000003C24: DBFE4880 90000004
	v_mfma_f32_16x16x16_bf16 v[128:131], a[188:189], v[32:33], v[128:131]// 000000003C2C: D3E10080 0E0241BC
	ds_read_b128 a[148:151], v4 offset:18624                   // 000000003C34: DBFE48C0 94000004
	v_mfma_f32_16x16x16_bf16 v[132:135], a[190:191], v[32:33], v[132:135]// 000000003C3C: D3E10084 0E1241BE
	ds_read_b128 a[152:155], v4 offset:18816                   // 000000003C44: DBFE4980 98000004
	v_mfma_f32_16x16x16_bf16 v[136:139], a[192:193], v[32:33], v[136:139]// 000000003C4C: D3E10088 0E2241C0
	ds_read_b128 a[156:159], v4 offset:18880                   // 000000003C54: DBFE49C0 9C000004
	v_mfma_f32_16x16x16_bf16 v[140:143], a[194:195], v[32:33], v[140:143]// 000000003C5C: D3E1008C 0E3241C2
	ds_read_b128 a[160:163], v4 offset:19072                   // 000000003C64: DBFE4A80 A0000004
	v_mfma_f32_16x16x16_bf16 v[144:147], a[196:197], v[32:33], v[144:147]// 000000003C6C: D3E10090 0E4241C4
	ds_read_b128 a[164:167], v4 offset:19136                   // 000000003C74: DBFE4AC0 A4000004
	v_mfma_f32_16x16x16_bf16 v[148:151], a[198:199], v[32:33], v[148:151]// 000000003C7C: D3E10094 0E5241C6
	ds_read_b128 a[168:171], v4 offset:19328                   // 000000003C84: DBFE4B80 A8000004
	v_mfma_f32_16x16x16_bf16 v[152:155], a[200:201], v[32:33], v[152:155]// 000000003C8C: D3E10098 0E6241C8
	ds_read_b128 a[172:175], v4 offset:19392                   // 000000003C94: DBFE4BC0 AC000004
	v_mfma_f32_16x16x16_bf16 v[156:159], a[202:203], v[32:33], v[156:159]// 000000003C9C: D3E1009C 0E7241CA
	s_waitcnt lgkmcnt(8)                                       // 000000003CA4: BF8CC87F
	v_perm_b32 v168, v22, v20, s53                             // 000000003CA8: D1ED00A8 00D62916
	v_perm_b32 v170, v22, v20, s52                             // 000000003CB0: D1ED00AA 00D22916
	v_perm_b32 v169, v26, v24, s53                             // 000000003CB8: D1ED00A9 00D6311A
	v_perm_b32 v171, v26, v24, s52                             // 000000003CC0: D1ED00AB 00D2311A
	v_mfma_f32_16x16x16_bf16 v[160:163], a[204:205], v[32:33], v[160:163]// 000000003CC8: D3E100A0 0E8241CC
	ds_write_b128 v6, v[168:171] offset:37120                  // 000000003CD0: D9BE9100 0000A806
	v_perm_b32 v168, v23, v21, s53                             // 000000003CD8: D1ED00A8 00D62B17
	v_perm_b32 v170, v23, v21, s52                             // 000000003CE0: D1ED00AA 00D22B17
	v_perm_b32 v169, v27, v25, s53                             // 000000003CE8: D1ED00A9 00D6331B
	v_perm_b32 v171, v27, v25, s52                             // 000000003CF0: D1ED00AB 00D2331B
	v_mfma_f32_16x16x16_bf16 v[164:167], a[206:207], v[32:33], v[164:167]// 000000003CF8: D3E100A4 0E9241CE
	ds_write_b128 v6, v[168:171] offset:38144                  // 000000003D00: D9BE9500 0000A806
	ds_read_b64 v[20:21], v5 offset:19584                      // 000000003D08: D8EC4C80 14000005
	ds_read_b64 v[22:23], v5 offset:24224                      // 000000003D10: D8EC5EA0 16000005
	ds_read_b64 v[24:25], v5 offset:28864                      // 000000003D18: D8EC70C0 18000005
	ds_read_b64 v[26:27], v5 offset:33504                      // 000000003D20: D8EC82E0 1A000005
	s_nop 0                                                    // 000000003D28: BF800000
	s_addk_i32 s70, 0x1                                        // 000000003D2C: B7460001
	s_cmp_lt_i32 s70, s71                                      // 000000003D30: BF044746
	s_cbranch_scc0 label_08CB                                  // 000000003D34: BF84023D
	s_waitcnt lgkmcnt(4)                                       // 000000003D38: BF8CC47F
	v_mfma_f32_16x16x16_bf16 v[32:35], a[144:145], a[0:1], 0   // 000000003D3C: D3E10020 1A020190
	ds_read_b128 a[176:179], v4 offset:19584                   // 000000003D44: DBFE4C80 B0000004
	ds_read_b128 a[180:183], v4 offset:19648                   // 000000003D4C: DBFE4CC0 B4000004
	v_mfma_f32_16x16x16_bf16 v[32:35], a[146:147], a[2:3], v[32:35]// 000000003D54: D3E10020 1C820592
	buffer_load_dword v11, v8, s[24:27], 0 offen               // 000000003D5C: E0501000 80060B08
	v_mfma_f32_16x16x16_bf16 v[32:35], a[148:149], a[4:5], v[32:35]// 000000003D64: D3E10020 1C820994
	v_mfma_f32_16x16x16_bf16 v[32:35], a[150:151], a[6:7], v[32:35]// 000000003D6C: D3E10020 1C820D96
	v_mfma_f32_16x16x16_bf16 v[32:35], a[152:153], a[8:9], v[32:35]// 000000003D74: D3E10020 1C821198
	ds_read_b128 a[184:187], v4 offset:19840                   // 000000003D7C: DBFE4D80 B8000004
	ds_read_b128 a[188:191], v4 offset:19904                   // 000000003D84: DBFE4DC0 BC000004
	v_mfma_f32_16x16x16_bf16 v[32:35], a[154:155], a[10:11], v[32:35]// 000000003D8C: D3E10020 1C82159A
	v_mfma_f32_16x16x16_bf16 v[32:35], a[156:157], a[12:13], v[32:35]// 000000003D94: D3E10020 1C82199C
	v_mfma_f32_16x16x16_bf16 v[32:35], a[158:159], a[14:15], v[32:35]// 000000003D9C: D3E10020 1C821D9E
	s_waitcnt lgkmcnt(4)                                       // 000000003DA4: BF8CC47F
	v_mfma_f32_16x16x16_bf16 v[32:35], a[160:161], a[16:17], v[32:35]// 000000003DA8: D3E10020 1C8221A0
	ds_read_b128 a[192:195], v4 offset:20096                   // 000000003DB0: DBFE4E80 C0000004
	ds_read_b128 a[196:199], v4 offset:20160                   // 000000003DB8: DBFE4EC0 C4000004
	v_mfma_f32_16x16x16_bf16 v[32:35], a[162:163], a[18:19], v[32:35]// 000000003DC0: D3E10020 1C8225A2
	v_mfma_f32_16x16x16_bf16 v[32:35], a[164:165], a[20:21], v[32:35]// 000000003DC8: D3E10020 1C8229A4
	v_mfma_f32_16x16x16_bf16 v[32:35], a[166:167], a[22:23], v[32:35]// 000000003DD0: D3E10020 1C822DA6
	v_mfma_f32_16x16x16_bf16 v[32:35], a[168:169], a[24:25], v[32:35]// 000000003DD8: D3E10020 1C8231A8
	ds_read_b128 a[200:203], v4 offset:20352                   // 000000003DE0: DBFE4F80 C8000004
	ds_read_b128 a[204:207], v4 offset:20416                   // 000000003DE8: DBFE4FC0 CC000004
	v_mfma_f32_16x16x16_bf16 v[32:35], a[170:171], a[26:27], v[32:35]// 000000003DF0: D3E10020 1C8235AA
	v_mfma_f32_16x16x16_bf16 v[32:35], a[172:173], a[28:29], v[32:35]// 000000003DF8: D3E10020 1C8239AC
	v_mfma_f32_16x16x16_bf16 v[32:35], a[174:175], a[30:31], v[32:35]// 000000003E00: D3E10020 1C823DAE
	s_waitcnt lgkmcnt(4)                                       // 000000003E08: BF8CC47F
	s_barrier                                                  // 000000003E0C: BF8A0000
	v_mfma_f32_16x16x16_bf16 v[32:35], a[176:177], a[32:33], v[32:35]// 000000003E10: D3E10020 1C8241B0
	ds_read_b128 a[208:211], v4 offset:20608                   // 000000003E18: DBFE5080 D0000004
	ds_read_b128 a[212:215], v4 offset:20672                   // 000000003E20: DBFE50C0 D4000004
	v_mfma_f32_16x16x16_bf16 v[32:35], a[178:179], a[34:35], v[32:35]// 000000003E28: D3E10020 1C8245B2
	v_mfma_f32_16x16x16_bf16 v[32:35], a[180:181], a[36:37], v[32:35]// 000000003E30: D3E10020 1C8249B4
	v_perm_b32 v168, v22, v20, s53                             // 000000003E38: D1ED00A8 00D62916
	v_perm_b32 v170, v22, v20, s52                             // 000000003E40: D1ED00AA 00D22916
	v_perm_b32 v169, v26, v24, s53                             // 000000003E48: D1ED00A9 00D6311A
	v_perm_b32 v171, v26, v24, s52                             // 000000003E50: D1ED00AB 00D2311A
	v_mfma_f32_16x16x16_bf16 v[32:35], a[182:183], a[38:39], v[32:35]// 000000003E58: D3E10020 1C824DB6
	buffer_load_dword v18, s[20:23], 0 offen lds               // 000000003E60: E0511000 80050012
	s_add_u32 m0, 0, s37                                       // 000000003E68: 807C2580
	v_mfma_f32_16x16x16_bf16 v[32:35], a[184:185], a[40:41], v[32:35]// 000000003E6C: D3E10020 1C8251B8
	ds_write_b128 v6, v[168:171] offset:45312                  // 000000003E74: D9BEB100 0000A806
	v_mfma_f32_16x16x16_bf16 v[32:35], a[186:187], a[42:43], v[32:35]// 000000003E7C: D3E10020 1C8255BA
	buffer_load_dword v19, s[20:23], 0 offen lds               // 000000003E84: E0511000 80050013
	s_add_u32 m0, 0x80, s36                                    // 000000003E8C: 807C24FF 00000080
	v_mfma_f32_16x16x16_bf16 v[32:35], a[188:189], a[44:45], v[32:35]// 000000003E94: D3E10020 1C8259BC
	v_perm_b32 v168, v23, v21, s53                             // 000000003E9C: D1ED00A8 00D62B17
	v_perm_b32 v170, v23, v21, s52                             // 000000003EA4: D1ED00AA 00D22B17
	v_perm_b32 v169, v27, v25, s53                             // 000000003EAC: D1ED00A9 00D6331B
	v_perm_b32 v171, v27, v25, s52                             // 000000003EB4: D1ED00AB 00D2331B
	v_mfma_f32_16x16x16_bf16 v[32:35], a[190:191], a[46:47], v[32:35]// 000000003EBC: D3E10020 1C825DBE
	buffer_load_dword v18, s[20:23], 0 offen offset:128 lds    // 000000003EC4: E0511080 80050012
	s_add_u32 m0, 0x80, s37                                    // 000000003ECC: 807C25FF 00000080
	s_waitcnt lgkmcnt(1)                                       // 000000003ED4: BF8CC17F
	v_mfma_f32_16x16x16_bf16 v[32:35], a[192:193], a[48:49], v[32:35]// 000000003ED8: D3E10020 1C8261C0
	ds_write_b128 v6, v[168:171] offset:46336                  // 000000003EE0: D9BEB500 0000A806
	v_mfma_f32_16x16x16_bf16 v[32:35], a[194:195], a[50:51], v[32:35]// 000000003EE8: D3E10020 1C8265C2
	buffer_load_dword v19, s[20:23], 0 offen offset:128 lds    // 000000003EF0: E0511080 80050013
	s_add_u32 m0, 0x100, s36                                   // 000000003EF8: 807C24FF 00000100
	v_mfma_f32_16x16x16_bf16 v[32:35], a[196:197], a[52:53], v[32:35]// 000000003F00: D3E10020 1C8269C4
	v_mfma_f32_16x16x16_bf16 v[32:35], a[198:199], a[54:55], v[32:35]// 000000003F08: D3E10020 1C826DC6
	buffer_load_dword v18, s[20:23], 0 offen offset:256 lds    // 000000003F10: E0511100 80050012
	s_add_u32 m0, 0x100, s37                                   // 000000003F18: 807C25FF 00000100
	v_mfma_f32_16x16x16_bf16 v[32:35], a[200:201], a[56:57], v[32:35]// 000000003F20: D3E10020 1C8271C8
	v_mfma_f32_16x16x16_bf16 v[32:35], a[202:203], a[58:59], v[32:35]// 000000003F28: D3E10020 1C8275CA
	buffer_load_dword v19, s[20:23], 0 offen offset:256 lds    // 000000003F30: E0511100 80050013
	s_add_u32 m0, 0x180, s36                                   // 000000003F38: 807C24FF 00000180
	v_mfma_f32_16x16x16_bf16 v[32:35], a[204:205], a[60:61], v[32:35]// 000000003F40: D3E10020 1C8279CC
	v_mfma_f32_16x16x16_bf16 v[32:35], a[206:207], a[62:63], v[32:35]// 000000003F48: D3E10020 1C827DCE
	buffer_load_dword v18, s[20:23], 0 offen offset:384 lds    // 000000003F50: E0511180 80050012
	s_add_u32 m0, 0x180, s37                                   // 000000003F58: 807C25FF 00000180
	v_mfma_f32_16x16x16_bf16 v[32:35], a[208:209], a[64:65], v[32:35]// 000000003F60: D3E10020 1C8281D0
	v_mfma_f32_16x16x16_bf16 v[32:35], a[210:211], a[66:67], v[32:35]// 000000003F68: D3E10020 1C8285D2
	buffer_load_dword v19, s[20:23], 0 offen offset:384 lds    // 000000003F70: E0511180 80050013
	s_add_u32 m0, 0x200, s36                                   // 000000003F78: 807C24FF 00000200
	v_mfma_f32_16x16x16_bf16 v[32:35], a[212:213], a[68:69], v[32:35]// 000000003F80: D3E10020 1C8289D4
	v_mfma_f32_16x16x16_bf16 v[32:35], a[214:215], a[70:71], v[32:35]// 000000003F88: D3E10020 1C828DD6
	buffer_load_dword v18, s[20:23], 0 offen offset:512 lds    // 000000003F90: E0511200 80050012
	s_add_u32 m0, 0x200, s37                                   // 000000003F98: 807C25FF 00000200
	v_add_u32_e32 v8, s73, v8                                  // 000000003FA0: 68101049
	s_waitcnt lgkmcnt(0)                                       // 000000003FA4: BF8CC07F
	s_barrier                                                  // 000000003FA8: BF8A0000
	v_max3_f32 v24, v32, v33, v32                              // 000000003FAC: D1D30018 04824320
	v_max3_f32 v24, v34, v35, v24                              // 000000003FB4: D1D30018 04624722
	ds_write_b32 v3, v24 offset:53504                          // 000000003FBC: D81AD100 00001803
	buffer_load_dword v19, s[20:23], 0 offen offset:512 lds    // 000000003FC4: E0511200 80050013
	s_add_u32 m0, 0x280, s36                                   // 000000003FCC: 807C24FF 00000280
	buffer_load_dword v18, s[20:23], 0 offen offset:640 lds    // 000000003FD4: E0511280 80050012
	s_add_u32 m0, 0x280, s37                                   // 000000003FDC: 807C25FF 00000280
	s_waitcnt lgkmcnt(0)                                       // 000000003FE4: BF8CC07F
	ds_read_b32 v20, v2 offset:53504                           // 000000003FE8: D86CD100 14000002
	ds_read_b32 v21, v2 offset:53568                           // 000000003FF0: D86CD140 15000002
	ds_read_b32 v22, v2 offset:53632                           // 000000003FF8: D86CD180 16000002
	ds_read_b32 v23, v2 offset:53696                           // 000000004000: D86CD1C0 17000002
	buffer_load_dword v19, s[20:23], 0 offen offset:640 lds    // 000000004008: E0511280 80050013
	s_add_u32 m0, 0x300, s36                                   // 000000004010: 807C24FF 00000300
	buffer_load_dword v18, s[20:23], 0 offen offset:768 lds    // 000000004018: E0511300 80050012
	s_add_u32 m0, 0x300, s37                                   // 000000004020: 807C25FF 00000300
	buffer_load_dword v19, s[20:23], 0 offen offset:768 lds    // 000000004028: E0511300 80050013
	s_add_u32 m0, 0x380, s36                                   // 000000004030: 807C24FF 00000380
	s_waitcnt lgkmcnt(0)                                       // 000000004038: BF8CC07F
	v_max3_f32 v24, v20, v21, v24                              // 00000000403C: D1D30018 04622B14
	v_max3_f32 v24, v22, v23, v24                              // 000000004044: D1D30018 04622F16
	buffer_load_dword v18, s[20:23], 0 offen offset:896 lds    // 00000000404C: E0511380 80050012
	s_add_u32 m0, 0x380, s37                                   // 000000004054: 807C25FF 00000380
	buffer_load_dword v19, s[20:23], 0 offen offset:896 lds    // 00000000405C: E0511380 80050013
	s_add_u32 m0, 0x400, s36                                   // 000000004064: 807C24FF 00000400
	ds_read_b128 a[144:147], v7 offset:37120                   // 00000000406C: DBFE9100 90000007
	ds_read_b128 a[148:151], v7 offset:38144                   // 000000004074: DBFE9500 94000007
	buffer_load_dword v18, s[20:23], 0 offen offset:1024 lds   // 00000000407C: E0511400 80050012
	s_add_u32 m0, 0x400, s37                                   // 000000004084: 807C25FF 00000400
	ds_read_b128 a[152:155], v7 offset:39168                   // 00000000408C: DBFE9900 98000007
	ds_read_b128 a[156:159], v7 offset:40192                   // 000000004094: DBFE9D00 9C000007
	buffer_load_dword v19, s[20:23], 0 offen offset:1024 lds   // 00000000409C: E0511400 80050013
	s_add_u32 m0, 0x480, s36                                   // 0000000040A4: 807C24FF 00000480
	ds_read_b128 a[160:163], v7 offset:41216                   // 0000000040AC: DBFEA100 A0000007
	ds_read_b128 a[164:167], v7 offset:42240                   // 0000000040B4: DBFEA500 A4000007
	ds_read_b128 a[168:171], v7 offset:43264                   // 0000000040BC: DBFEA900 A8000007
	ds_read_b128 a[172:175], v7 offset:44288                   // 0000000040C4: DBFEAD00 AC000007
	v_mov_b32_e32 v25, 0xff7fffff                              // 0000000040CC: 7E3202FF FF7FFFFF
	v_cmp_eq_u32_e64 s[38:39], v25, v12                        // 0000000040D4: D0CA0026 00021919
	v_max_f32_e32 v20, v24, v12                                // 0000000040DC: 16281918
	v_sub_f32_e32 v16, v12, v20                                // 0000000040E0: 0420290C
	v_cndmask_b32_e64 v16, v16, 0, s[38:39]                    // 0000000040E4: D1000010 00990110
	v_mov_b32_e32 v12, v20                                     // 0000000040EC: 7E180314
	v_mul_f32_e32 v21, s5, v20                                 // 0000000040F0: 0A2A2805
	v_mul_f32_e32 v16, s5, v16                                 // 0000000040F4: 0A202005
	v_exp_f32_e32 v16, v16                                     // 0000000040F8: 7E204110
	v_fma_f32 v32, v32, s5, -v21                               // 0000000040FC: D1CB0020 84540B20
	v_fma_f32 v33, v33, s5, -v21                               // 000000004104: D1CB0021 84540B21
	v_fma_f32 v34, v34, s5, -v21                               // 00000000410C: D1CB0022 84540B22
	v_fma_f32 v35, v35, s5, -v21                               // 000000004114: D1CB0023 84540B23
	v_exp_f32_e32 v32, v32                                     // 00000000411C: 7E404120
	v_exp_f32_e32 v33, v33                                     // 000000004120: 7E424121
	v_exp_f32_e32 v34, v34                                     // 000000004124: 7E444122
	v_exp_f32_e32 v35, v35                                     // 000000004128: 7E464123
	v_mul_f32_e32 v14, v16, v14                                // 00000000412C: 0A1C1D10
	v_mov_b32_e32 v22, v32                                     // 000000004130: 7E2C0320
	v_add_f32_e32 v22, v33, v22                                // 000000004134: 022C2D21
	v_add_f32_e32 v22, v34, v22                                // 000000004138: 022C2D22
	v_add_f32_e32 v22, v35, v22                                // 00000000413C: 022C2D23
	v_add_f32_e32 v14, v22, v14                                // 000000004140: 021C1D16
	v_mov_b32_e32 v29, 0xffff0000                              // 000000004144: 7E3A02FF FFFF0000
	v_mov_b32_e32 v30, 0x7fff0000                              // 00000000414C: 7E3C02FF 7FFF0000
	v_mov_b32_e32 v31, 0x7fff                                  // 000000004154: 7E3E02FF 00007FFF
	v_cmp_u_f32_e64 s[38:39], v32, v32                         // 00000000415C: D0480026 00024120
	v_add3_u32 v28, v32, v31, 1                                // 000000004164: D1FF001C 02063F20
	v_cndmask_b32_e64 v20, v28, v30, s[38:39]                  // 00000000416C: D1000014 009A3D1C
	v_cmp_u_f32_e64 s[38:39], v33, v33                         // 000000004174: D0480026 00024321
	v_add3_u32 v28, v33, v31, 1                                // 00000000417C: D1FF001C 02063F21
	v_cndmask_b32_e64 v21, v28, v30, s[38:39]                  // 000000004184: D1000015 009A3D1C
	v_perm_b32 v32, v21, v20, s52                              // 00000000418C: D1ED0020 00D22915
	v_cmp_u_f32_e64 s[38:39], v34, v34                         // 000000004194: D0480026 00024522
	v_add3_u32 v28, v34, v31, 1                                // 00000000419C: D1FF001C 02063F22
	v_cndmask_b32_e64 v20, v28, v30, s[38:39]                  // 0000000041A4: D1000014 009A3D1C
	v_cmp_u_f32_e64 s[38:39], v35, v35                         // 0000000041AC: D0480026 00024723
	v_add3_u32 v28, v35, v31, 1                                // 0000000041B4: D1FF001C 02063F23
	v_cndmask_b32_e64 v21, v28, v30, s[38:39]                  // 0000000041BC: D1000015 009A3D1C
	v_perm_b32 v33, v21, v20, s52                              // 0000000041C4: D1ED0021 00D22915
	s_nop 2                                                    // 0000000041CC: BF800002
	v_mul_u32_u24_dpp v18, v10, v9 row_newbcast:0 row_mask:0xf bank_mask:0xf// 0000000041D0: 102412FA FF01500A
	v_mul_u32_u24_dpp v19, v10, v9 row_newbcast:8 row_mask:0xf bank_mask:0xf// 0000000041D8: 102612FA FF01580A
	v_add_u32_e32 v18, v18, v1                                 // 0000000041E0: 68240312
	v_add_u32_e32 v19, v19, v1                                 // 0000000041E4: 68260313
	s_mov_b32 m0, s34                                          // 0000000041E8: BEFC0022
	v_mov_b32_e32 v22, v16                                     // 0000000041EC: 7E2C0310
	v_mov_b32_e32 v23, v16                                     // 0000000041F0: 7E2E0310
	v_pk_mul_f32 v[40:41], v[22:23], v[40:41]                  // 0000000041F4: D3B14028 18025116
	v_pk_mul_f32 v[42:43], v[22:23], v[42:43]                  // 0000000041FC: D3B1402A 18025516
	v_pk_mul_f32 v[44:45], v[22:23], v[44:45]                  // 000000004204: D3B1402C 18025916
	v_pk_mul_f32 v[46:47], v[22:23], v[46:47]                  // 00000000420C: D3B1402E 18025D16
	v_pk_mul_f32 v[48:49], v[22:23], v[48:49]                  // 000000004214: D3B14030 18026116
	v_pk_mul_f32 v[50:51], v[22:23], v[50:51]                  // 00000000421C: D3B14032 18026516
	v_pk_mul_f32 v[52:53], v[22:23], v[52:53]                  // 000000004224: D3B14034 18026916
	v_pk_mul_f32 v[54:55], v[22:23], v[54:55]                  // 00000000422C: D3B14036 18026D16
	v_pk_mul_f32 v[56:57], v[22:23], v[56:57]                  // 000000004234: D3B14038 18027116
	v_pk_mul_f32 v[58:59], v[22:23], v[58:59]                  // 00000000423C: D3B1403A 18027516
	v_pk_mul_f32 v[60:61], v[22:23], v[60:61]                  // 000000004244: D3B1403C 18027916
	v_pk_mul_f32 v[62:63], v[22:23], v[62:63]                  // 00000000424C: D3B1403E 18027D16
	v_pk_mul_f32 v[64:65], v[22:23], v[64:65]                  // 000000004254: D3B14040 18028116
	v_pk_mul_f32 v[66:67], v[22:23], v[66:67]                  // 00000000425C: D3B14042 18028516
	v_pk_mul_f32 v[68:69], v[22:23], v[68:69]                  // 000000004264: D3B14044 18028916
	v_pk_mul_f32 v[70:71], v[22:23], v[70:71]                  // 00000000426C: D3B14046 18028D16
	v_pk_mul_f32 v[72:73], v[22:23], v[72:73]                  // 000000004274: D3B14048 18029116
	v_pk_mul_f32 v[74:75], v[22:23], v[74:75]                  // 00000000427C: D3B1404A 18029516
	v_pk_mul_f32 v[76:77], v[22:23], v[76:77]                  // 000000004284: D3B1404C 18029916
	v_pk_mul_f32 v[78:79], v[22:23], v[78:79]                  // 00000000428C: D3B1404E 18029D16
	v_pk_mul_f32 v[80:81], v[22:23], v[80:81]                  // 000000004294: D3B14050 1802A116
	v_pk_mul_f32 v[82:83], v[22:23], v[82:83]                  // 00000000429C: D3B14052 1802A516
	v_pk_mul_f32 v[84:85], v[22:23], v[84:85]                  // 0000000042A4: D3B14054 1802A916
	v_pk_mul_f32 v[86:87], v[22:23], v[86:87]                  // 0000000042AC: D3B14056 1802AD16
	v_pk_mul_f32 v[88:89], v[22:23], v[88:89]                  // 0000000042B4: D3B14058 1802B116
	v_pk_mul_f32 v[90:91], v[22:23], v[90:91]                  // 0000000042BC: D3B1405A 1802B516
	v_pk_mul_f32 v[92:93], v[22:23], v[92:93]                  // 0000000042C4: D3B1405C 1802B916
	v_pk_mul_f32 v[94:95], v[22:23], v[94:95]                  // 0000000042CC: D3B1405E 1802BD16
	v_pk_mul_f32 v[96:97], v[22:23], v[96:97]                  // 0000000042D4: D3B14060 1802C116
	v_pk_mul_f32 v[98:99], v[22:23], v[98:99]                  // 0000000042DC: D3B14062 1802C516
	v_pk_mul_f32 v[100:101], v[22:23], v[100:101]              // 0000000042E4: D3B14064 1802C916
	v_pk_mul_f32 v[102:103], v[22:23], v[102:103]              // 0000000042EC: D3B14066 1802CD16
	v_pk_mul_f32 v[104:105], v[22:23], v[104:105]              // 0000000042F4: D3B14068 1802D116
	v_pk_mul_f32 v[106:107], v[22:23], v[106:107]              // 0000000042FC: D3B1406A 1802D516
	v_pk_mul_f32 v[108:109], v[22:23], v[108:109]              // 000000004304: D3B1406C 1802D916
	v_pk_mul_f32 v[110:111], v[22:23], v[110:111]              // 00000000430C: D3B1406E 1802DD16
	v_pk_mul_f32 v[112:113], v[22:23], v[112:113]              // 000000004314: D3B14070 1802E116
	v_pk_mul_f32 v[114:115], v[22:23], v[114:115]              // 00000000431C: D3B14072 1802E516
	v_pk_mul_f32 v[116:117], v[22:23], v[116:117]              // 000000004324: D3B14074 1802E916
	v_pk_mul_f32 v[118:119], v[22:23], v[118:119]              // 00000000432C: D3B14076 1802ED16
	v_pk_mul_f32 v[120:121], v[22:23], v[120:121]              // 000000004334: D3B14078 1802F116
	v_pk_mul_f32 v[122:123], v[22:23], v[122:123]              // 00000000433C: D3B1407A 1802F516
	v_pk_mul_f32 v[124:125], v[22:23], v[124:125]              // 000000004344: D3B1407C 1802F916
	v_pk_mul_f32 v[126:127], v[22:23], v[126:127]              // 00000000434C: D3B1407E 1802FD16
	v_pk_mul_f32 v[128:129], v[22:23], v[128:129]              // 000000004354: D3B14080 18030116
	v_pk_mul_f32 v[130:131], v[22:23], v[130:131]              // 00000000435C: D3B14082 18030516
	v_pk_mul_f32 v[132:133], v[22:23], v[132:133]              // 000000004364: D3B14084 18030916
	v_pk_mul_f32 v[134:135], v[22:23], v[134:135]              // 00000000436C: D3B14086 18030D16
	v_pk_mul_f32 v[136:137], v[22:23], v[136:137]              // 000000004374: D3B14088 18031116
	v_pk_mul_f32 v[138:139], v[22:23], v[138:139]              // 00000000437C: D3B1408A 18031516
	v_pk_mul_f32 v[140:141], v[22:23], v[140:141]              // 000000004384: D3B1408C 18031916
	v_pk_mul_f32 v[142:143], v[22:23], v[142:143]              // 00000000438C: D3B1408E 18031D16
	v_pk_mul_f32 v[144:145], v[22:23], v[144:145]              // 000000004394: D3B14090 18032116
	v_pk_mul_f32 v[146:147], v[22:23], v[146:147]              // 00000000439C: D3B14092 18032516
	v_pk_mul_f32 v[148:149], v[22:23], v[148:149]              // 0000000043A4: D3B14094 18032916
	v_pk_mul_f32 v[150:151], v[22:23], v[150:151]              // 0000000043AC: D3B14096 18032D16
	v_pk_mul_f32 v[152:153], v[22:23], v[152:153]              // 0000000043B4: D3B14098 18033116
	v_pk_mul_f32 v[154:155], v[22:23], v[154:155]              // 0000000043BC: D3B1409A 18033516
	v_pk_mul_f32 v[156:157], v[22:23], v[156:157]              // 0000000043C4: D3B1409C 18033916
	v_pk_mul_f32 v[158:159], v[22:23], v[158:159]              // 0000000043CC: D3B1409E 18033D16
	v_pk_mul_f32 v[160:161], v[22:23], v[160:161]              // 0000000043D4: D3B140A0 18034116
	v_pk_mul_f32 v[162:163], v[22:23], v[162:163]              // 0000000043DC: D3B140A2 18034516
	v_pk_mul_f32 v[164:165], v[22:23], v[164:165]              // 0000000043E4: D3B140A4 18034916
	v_pk_mul_f32 v[166:167], v[22:23], v[166:167]              // 0000000043EC: D3B140A6 18034D16
	s_waitcnt lgkmcnt(0)                                       // 0000000043F4: BF8CC07F
	v_mfma_f32_16x16x16_bf16 v[40:43], a[144:145], v[32:33], v[40:43]// 0000000043F8: D3E10028 0CA24190
	ds_read_b128 a[176:179], v7 offset:45312                   // 000000004400: DBFEB100 B0000007
	ds_read_b128 a[180:183], v7 offset:46336                   // 000000004408: DBFEB500 B4000007
	v_mfma_f32_16x16x16_bf16 v[44:47], a[146:147], v[32:33], v[44:47]// 000000004410: D3E1002C 0CB24192
	v_mfma_f32_16x16x16_bf16 v[48:51], a[148:149], v[32:33], v[48:51]// 000000004418: D3E10030 0CC24194
	v_mfma_f32_16x16x16_bf16 v[52:55], a[150:151], v[32:33], v[52:55]// 000000004420: D3E10034 0CD24196
	v_mfma_f32_16x16x16_bf16 v[56:59], a[152:153], v[32:33], v[56:59]// 000000004428: D3E10038 0CE24198
	ds_read_b128 a[184:187], v7 offset:47360                   // 000000004430: DBFEB900 B8000007
	ds_read_b128 a[188:191], v7 offset:48384                   // 000000004438: DBFEBD00 BC000007
	v_mfma_f32_16x16x16_bf16 v[60:63], a[154:155], v[32:33], v[60:63]// 000000004440: D3E1003C 0CF2419A
	v_mfma_f32_16x16x16_bf16 v[64:67], a[156:157], v[32:33], v[64:67]// 000000004448: D3E10040 0D02419C
	v_mfma_f32_16x16x16_bf16 v[68:71], a[158:159], v[32:33], v[68:71]// 000000004450: D3E10044 0D12419E
	v_mfma_f32_16x16x16_bf16 v[72:75], a[160:161], v[32:33], v[72:75]// 000000004458: D3E10048 0D2241A0
	ds_read_b128 a[192:195], v7 offset:49408                   // 000000004460: DBFEC100 C0000007
	ds_read_b128 a[196:199], v7 offset:50432                   // 000000004468: DBFEC500 C4000007
	v_mfma_f32_16x16x16_bf16 v[76:79], a[162:163], v[32:33], v[76:79]// 000000004470: D3E1004C 0D3241A2
	v_mfma_f32_16x16x16_bf16 v[80:83], a[164:165], v[32:33], v[80:83]// 000000004478: D3E10050 0D4241A4
	v_mfma_f32_16x16x16_bf16 v[84:87], a[166:167], v[32:33], v[84:87]// 000000004480: D3E10054 0D5241A6
	v_mfma_f32_16x16x16_bf16 v[88:91], a[168:169], v[32:33], v[88:91]// 000000004488: D3E10058 0D6241A8
	ds_read_b128 a[200:203], v7 offset:51456                   // 000000004490: DBFEC900 C8000007
	ds_read_b128 a[204:207], v7 offset:52480                   // 000000004498: DBFECD00 CC000007
	v_mfma_f32_16x16x16_bf16 v[92:95], a[170:171], v[32:33], v[92:95]// 0000000044A0: D3E1005C 0D7241AA
	v_mfma_f32_16x16x16_bf16 v[96:99], a[172:173], v[32:33], v[96:99]// 0000000044A8: D3E10060 0D8241AC
	v_mfma_f32_16x16x16_bf16 v[100:103], a[174:175], v[32:33], v[100:103]// 0000000044B0: D3E10064 0D9241AE
	s_waitcnt lgkmcnt(4)                                       // 0000000044B8: BF8CC47F
	v_mfma_f32_16x16x16_bf16 v[104:107], a[176:177], v[32:33], v[104:107]// 0000000044BC: D3E10068 0DA241B0
	v_mfma_f32_16x16x16_bf16 v[108:111], a[178:179], v[32:33], v[108:111]// 0000000044C4: D3E1006C 0DB241B2
	v_mfma_f32_16x16x16_bf16 v[112:115], a[180:181], v[32:33], v[112:115]// 0000000044CC: D3E10070 0DC241B4
	s_waitcnt vmcnt(18) lgkmcnt(0)                             // 0000000044D4: BF8C4072
	s_barrier                                                  // 0000000044D8: BF8A0000
	v_mfma_f32_16x16x16_bf16 v[116:119], a[182:183], v[32:33], v[116:119]// 0000000044DC: D3E10074 0DD241B6
	ds_read_b64 v[20:21], v5                                   // 0000000044E4: D8EC0000 14000005
	ds_read_b64 v[22:23], v5 offset:4640                       // 0000000044EC: D8EC1220 16000005
	v_mfma_f32_16x16x16_bf16 v[120:123], a[184:185], v[32:33], v[120:123]// 0000000044F4: D3E10078 0DE241B8
	ds_read_b64 v[24:25], v5 offset:9280                       // 0000000044FC: D8EC2440 18000005
	ds_read_b64 v[26:27], v5 offset:13920                      // 000000004504: D8EC3660 1A000005
	v_mfma_f32_16x16x16_bf16 v[124:127], a[186:187], v[32:33], v[124:127]// 00000000450C: D3E1007C 0DF241BA
	ds_read_b128 a[144:147], v4                                // 000000004514: DBFE0000 90000004
	v_mfma_f32_16x16x16_bf16 v[128:131], a[188:189], v[32:33], v[128:131]// 00000000451C: D3E10080 0E0241BC
	ds_read_b128 a[148:151], v4 offset:64                      // 000000004524: DBFE0040 94000004
	v_mfma_f32_16x16x16_bf16 v[132:135], a[190:191], v[32:33], v[132:135]// 00000000452C: D3E10084 0E1241BE
	ds_read_b128 a[152:155], v4 offset:256                     // 000000004534: DBFE0100 98000004
	v_mfma_f32_16x16x16_bf16 v[136:139], a[192:193], v[32:33], v[136:139]// 00000000453C: D3E10088 0E2241C0
	ds_read_b128 a[156:159], v4 offset:320                     // 000000004544: DBFE0140 9C000004
	v_mfma_f32_16x16x16_bf16 v[140:143], a[194:195], v[32:33], v[140:143]// 00000000454C: D3E1008C 0E3241C2
	ds_read_b128 a[160:163], v4 offset:512                     // 000000004554: DBFE0200 A0000004
	v_mfma_f32_16x16x16_bf16 v[144:147], a[196:197], v[32:33], v[144:147]// 00000000455C: D3E10090 0E4241C4
	ds_read_b128 a[164:167], v4 offset:576                     // 000000004564: DBFE0240 A4000004
	v_mfma_f32_16x16x16_bf16 v[148:151], a[198:199], v[32:33], v[148:151]// 00000000456C: D3E10094 0E5241C6
	ds_read_b128 a[168:171], v4 offset:768                     // 000000004574: DBFE0300 A8000004
	v_mfma_f32_16x16x16_bf16 v[152:155], a[200:201], v[32:33], v[152:155]// 00000000457C: D3E10098 0E6241C8
	ds_read_b128 a[172:175], v4 offset:832                     // 000000004584: DBFE0340 AC000004
	v_mfma_f32_16x16x16_bf16 v[156:159], a[202:203], v[32:33], v[156:159]// 00000000458C: D3E1009C 0E7241CA
	s_waitcnt lgkmcnt(8)                                       // 000000004594: BF8CC87F
	v_perm_b32 v168, v22, v20, s53                             // 000000004598: D1ED00A8 00D62916
	v_perm_b32 v170, v22, v20, s52                             // 0000000045A0: D1ED00AA 00D22916
	v_perm_b32 v169, v26, v24, s53                             // 0000000045A8: D1ED00A9 00D6311A
	v_perm_b32 v171, v26, v24, s52                             // 0000000045B0: D1ED00AB 00D2311A
	v_mfma_f32_16x16x16_bf16 v[160:163], a[204:205], v[32:33], v[160:163]// 0000000045B8: D3E100A0 0E8241CC
	ds_write_b128 v6, v[168:171] offset:37120                  // 0000000045C0: D9BE9100 0000A806
	v_perm_b32 v168, v23, v21, s53                             // 0000000045C8: D1ED00A8 00D62B17
	v_perm_b32 v170, v23, v21, s52                             // 0000000045D0: D1ED00AA 00D22B17
	v_perm_b32 v169, v27, v25, s53                             // 0000000045D8: D1ED00A9 00D6331B
	v_perm_b32 v171, v27, v25, s52                             // 0000000045E0: D1ED00AB 00D2331B
	v_mfma_f32_16x16x16_bf16 v[164:167], a[206:207], v[32:33], v[164:167]// 0000000045E8: D3E100A4 0E9241CE
	ds_write_b128 v6, v[168:171] offset:38144                  // 0000000045F0: D9BE9500 0000A806
	ds_read_b64 v[20:21], v5 offset:1024                       // 0000000045F8: D8EC0400 14000005
	ds_read_b64 v[22:23], v5 offset:5664                       // 000000004600: D8EC1620 16000005
	ds_read_b64 v[24:25], v5 offset:10304                      // 000000004608: D8EC2840 18000005
	ds_read_b64 v[26:27], v5 offset:14944                      // 000000004610: D8EC3A60 1A000005
	s_nop 0                                                    // 000000004618: BF800000
	s_addk_i32 s70, 0x1                                        // 00000000461C: B7460001
	s_cmp_lt_i32 s70, s71                                      // 000000004620: BF044746
	s_cbranch_scc0 label_08CB                                  // 000000004624: BF840001
	s_branch label_0452                                        // 000000004628: BF82FB87

000000000000462c <label_08CB>:
	s_nop 0                                                    // 00000000462C: BF800000
	s_nop 0                                                    // 000000004630: BF800000
	s_branch label_0D47                                        // 000000004634: BF820479

0000000000004638 <label_08CE>:
	s_waitcnt lgkmcnt(4)                                       // 000000004638: BF8CC47F
	v_mfma_f32_16x16x16_bf16 v[32:35], a[144:145], a[0:1], 0   // 00000000463C: D3E10020 1A020190
	buffer_load_dword v10, v8, s[24:27], 0 offen               // 000000004644: E0501000 80060A08
	v_mfma_f32_16x16x16_bf16 v[32:35], a[146:147], a[2:3], v[32:35]// 00000000464C: D3E10020 1C820592
	ds_read_b128 a[176:179], v4 offset:1024                    // 000000004654: DBFE0400 B0000004
	ds_read_b128 a[180:183], v4 offset:1088                    // 00000000465C: DBFE0440 B4000004
	v_mfma_f32_16x16x16_bf16 v[32:35], a[148:149], a[4:5], v[32:35]// 000000004664: D3E10020 1C820994
	v_mfma_f32_16x16x16_bf16 v[32:35], a[150:151], a[6:7], v[32:35]// 00000000466C: D3E10020 1C820D96
	v_mfma_f32_16x16x16_bf16 v[32:35], a[152:153], a[8:9], v[32:35]// 000000004674: D3E10020 1C821198
	v_mfma_f32_16x16x16_bf16 v[32:35], a[154:155], a[10:11], v[32:35]// 00000000467C: D3E10020 1C82159A
	ds_read_b128 a[184:187], v4 offset:1280                    // 000000004684: DBFE0500 B8000004
	ds_read_b128 a[188:191], v4 offset:1344                    // 00000000468C: DBFE0540 BC000004
	v_mfma_f32_16x16x16_bf16 v[32:35], a[156:157], a[12:13], v[32:35]// 000000004694: D3E10020 1C82199C
	v_mfma_f32_16x16x16_bf16 v[32:35], a[158:159], a[14:15], v[32:35]// 00000000469C: D3E10020 1C821D9E
	s_waitcnt lgkmcnt(4)                                       // 0000000046A4: BF8CC47F
	v_mfma_f32_16x16x16_bf16 v[32:35], a[160:161], a[16:17], v[32:35]// 0000000046A8: D3E10020 1C8221A0
	v_mfma_f32_16x16x16_bf16 v[32:35], a[162:163], a[18:19], v[32:35]// 0000000046B0: D3E10020 1C8225A2
	ds_read_b128 a[192:195], v4 offset:1536                    // 0000000046B8: DBFE0600 C0000004
	ds_read_b128 a[196:199], v4 offset:1600                    // 0000000046C0: DBFE0640 C4000004
	v_mfma_f32_16x16x16_bf16 v[32:35], a[164:165], a[20:21], v[32:35]// 0000000046C8: D3E10020 1C8229A4
	v_mfma_f32_16x16x16_bf16 v[32:35], a[166:167], a[22:23], v[32:35]// 0000000046D0: D3E10020 1C822DA6
	v_mfma_f32_16x16x16_bf16 v[32:35], a[168:169], a[24:25], v[32:35]// 0000000046D8: D3E10020 1C8231A8
	v_mfma_f32_16x16x16_bf16 v[32:35], a[170:171], a[26:27], v[32:35]// 0000000046E0: D3E10020 1C8235AA
	ds_read_b128 a[200:203], v4 offset:1792                    // 0000000046E8: DBFE0700 C8000004
	ds_read_b128 a[204:207], v4 offset:1856                    // 0000000046F0: DBFE0740 CC000004
	v_mfma_f32_16x16x16_bf16 v[32:35], a[172:173], a[28:29], v[32:35]// 0000000046F8: D3E10020 1C8239AC
	v_mfma_f32_16x16x16_bf16 v[32:35], a[174:175], a[30:31], v[32:35]// 000000004700: D3E10020 1C823DAE
	s_waitcnt lgkmcnt(4)                                       // 000000004708: BF8CC47F
	s_barrier                                                  // 00000000470C: BF8A0000
	v_mfma_f32_16x16x16_bf16 v[32:35], a[176:177], a[32:33], v[32:35]// 000000004710: D3E10020 1C8241B0
	v_mfma_f32_16x16x16_bf16 v[32:35], a[178:179], a[34:35], v[32:35]// 000000004718: D3E10020 1C8245B2
	ds_read_b128 a[208:211], v4 offset:2048                    // 000000004720: DBFE0800 D0000004
	ds_read_b128 a[212:215], v4 offset:2112                    // 000000004728: DBFE0840 D4000004
	v_mfma_f32_16x16x16_bf16 v[32:35], a[180:181], a[36:37], v[32:35]// 000000004730: D3E10020 1C8249B4
	buffer_load_dword v18, s[20:23], 0 offen lds               // 000000004738: E0511000 80050012
	s_add_u32 m0, 0, s35                                       // 000000004740: 807C2380
	v_mfma_f32_16x16x16_bf16 v[32:35], a[182:183], a[38:39], v[32:35]// 000000004744: D3E10020 1C824DB6
	v_perm_b32 v168, v22, v20, s53                             // 00000000474C: D1ED00A8 00D62916
	v_perm_b32 v170, v22, v20, s52                             // 000000004754: D1ED00AA 00D22916
	v_perm_b32 v169, v26, v24, s53                             // 00000000475C: D1ED00A9 00D6311A
	v_perm_b32 v171, v26, v24, s52                             // 000000004764: D1ED00AB 00D2311A
	v_mfma_f32_16x16x16_bf16 v[32:35], a[184:185], a[40:41], v[32:35]// 00000000476C: D3E10020 1C8251B8
	buffer_load_dword v19, s[20:23], 0 offen lds               // 000000004774: E0511000 80050013
	s_add_u32 m0, 0x80, s34                                    // 00000000477C: 807C22FF 00000080
	v_mfma_f32_16x16x16_bf16 v[32:35], a[186:187], a[42:43], v[32:35]// 000000004784: D3E10020 1C8255BA
	ds_write_b128 v6, v[168:171] offset:45312                  // 00000000478C: D9BEB100 0000A806
	v_mfma_f32_16x16x16_bf16 v[32:35], a[188:189], a[44:45], v[32:35]// 000000004794: D3E10020 1C8259BC
	buffer_load_dword v18, s[20:23], 0 offen offset:128 lds    // 00000000479C: E0511080 80050012
	s_add_u32 m0, 0x80, s35                                    // 0000000047A4: 807C23FF 00000080
	v_mfma_f32_16x16x16_bf16 v[32:35], a[190:191], a[46:47], v[32:35]// 0000000047AC: D3E10020 1C825DBE
	v_perm_b32 v168, v23, v21, s53                             // 0000000047B4: D1ED00A8 00D62B17
	v_perm_b32 v170, v23, v21, s52                             // 0000000047BC: D1ED00AA 00D22B17
	v_perm_b32 v169, v27, v25, s53                             // 0000000047C4: D1ED00A9 00D6331B
	v_perm_b32 v171, v27, v25, s52                             // 0000000047CC: D1ED00AB 00D2331B
	s_waitcnt lgkmcnt(1)                                       // 0000000047D4: BF8CC17F
	v_mfma_f32_16x16x16_bf16 v[32:35], a[192:193], a[48:49], v[32:35]// 0000000047D8: D3E10020 1C8261C0
	buffer_load_dword v19, s[20:23], 0 offen offset:128 lds    // 0000000047E0: E0511080 80050013
	s_add_u32 m0, 0x100, s34                                   // 0000000047E8: 807C22FF 00000100
	v_mfma_f32_16x16x16_bf16 v[32:35], a[194:195], a[50:51], v[32:35]// 0000000047F0: D3E10020 1C8265C2
	ds_write_b128 v6, v[168:171] offset:46336                  // 0000000047F8: D9BEB500 0000A806
	v_mfma_f32_16x16x16_bf16 v[32:35], a[196:197], a[52:53], v[32:35]// 000000004800: D3E10020 1C8269C4
	buffer_load_dword v18, s[20:23], 0 offen offset:256 lds    // 000000004808: E0511100 80050012
	s_add_u32 m0, 0x100, s35                                   // 000000004810: 807C23FF 00000100
	v_mfma_f32_16x16x16_bf16 v[32:35], a[198:199], a[54:55], v[32:35]// 000000004818: D3E10020 1C826DC6
	v_mfma_f32_16x16x16_bf16 v[32:35], a[200:201], a[56:57], v[32:35]// 000000004820: D3E10020 1C8271C8
	buffer_load_dword v19, s[20:23], 0 offen offset:256 lds    // 000000004828: E0511100 80050013
	s_add_u32 m0, 0x180, s34                                   // 000000004830: 807C22FF 00000180
	v_mfma_f32_16x16x16_bf16 v[32:35], a[202:203], a[58:59], v[32:35]// 000000004838: D3E10020 1C8275CA
	v_mfma_f32_16x16x16_bf16 v[32:35], a[204:205], a[60:61], v[32:35]// 000000004840: D3E10020 1C8279CC
	buffer_load_dword v18, s[20:23], 0 offen offset:384 lds    // 000000004848: E0511180 80050012
	s_add_u32 m0, 0x180, s35                                   // 000000004850: 807C23FF 00000180
	v_mfma_f32_16x16x16_bf16 v[32:35], a[206:207], a[62:63], v[32:35]// 000000004858: D3E10020 1C827DCE
	v_mfma_f32_16x16x16_bf16 v[32:35], a[208:209], a[64:65], v[32:35]// 000000004860: D3E10020 1C8281D0
	buffer_load_dword v19, s[20:23], 0 offen offset:384 lds    // 000000004868: E0511180 80050013
	s_add_u32 m0, 0x200, s34                                   // 000000004870: 807C22FF 00000200
	v_mfma_f32_16x16x16_bf16 v[32:35], a[210:211], a[66:67], v[32:35]// 000000004878: D3E10020 1C8285D2
	v_mfma_f32_16x16x16_bf16 v[32:35], a[212:213], a[68:69], v[32:35]// 000000004880: D3E10020 1C8289D4
	buffer_load_dword v18, s[20:23], 0 offen offset:512 lds    // 000000004888: E0511200 80050012
	s_add_u32 m0, 0x200, s35                                   // 000000004890: 807C23FF 00000200
	v_mfma_f32_16x16x16_bf16 v[32:35], a[214:215], a[70:71], v[32:35]// 000000004898: D3E10020 1C828DD6
	v_add_u32_e32 v8, s73, v8                                  // 0000000048A0: 68101049
	s_waitcnt lgkmcnt(0)                                       // 0000000048A4: BF8CC07F
	s_barrier                                                  // 0000000048A8: BF8A0000
	v_max3_f32 v24, v32, v33, v32                              // 0000000048AC: D1D30018 04824320
	v_max3_f32 v24, v34, v35, v24                              // 0000000048B4: D1D30018 04624722
	ds_write_b32 v3, v24 offset:53504                          // 0000000048BC: D81AD100 00001803
	buffer_load_dword v19, s[20:23], 0 offen offset:512 lds    // 0000000048C4: E0511200 80050013
	s_add_u32 m0, 0x280, s34                                   // 0000000048CC: 807C22FF 00000280
	buffer_load_dword v18, s[20:23], 0 offen offset:640 lds    // 0000000048D4: E0511280 80050012
	s_add_u32 m0, 0x280, s35                                   // 0000000048DC: 807C23FF 00000280
	s_waitcnt lgkmcnt(0)                                       // 0000000048E4: BF8CC07F
	ds_read_b32 v20, v2 offset:53504                           // 0000000048E8: D86CD100 14000002
	ds_read_b32 v21, v2 offset:53568                           // 0000000048F0: D86CD140 15000002
	ds_read_b32 v22, v2 offset:53632                           // 0000000048F8: D86CD180 16000002
	ds_read_b32 v23, v2 offset:53696                           // 000000004900: D86CD1C0 17000002
	buffer_load_dword v19, s[20:23], 0 offen offset:640 lds    // 000000004908: E0511280 80050013
	s_add_u32 m0, 0x300, s34                                   // 000000004910: 807C22FF 00000300
	buffer_load_dword v18, s[20:23], 0 offen offset:768 lds    // 000000004918: E0511300 80050012
	s_add_u32 m0, 0x300, s35                                   // 000000004920: 807C23FF 00000300
	buffer_load_dword v19, s[20:23], 0 offen offset:768 lds    // 000000004928: E0511300 80050013
	s_add_u32 m0, 0x380, s34                                   // 000000004930: 807C22FF 00000380
	s_waitcnt lgkmcnt(0)                                       // 000000004938: BF8CC07F
	v_max3_f32 v24, v20, v21, v24                              // 00000000493C: D1D30018 04622B14
	v_max3_f32 v24, v22, v23, v24                              // 000000004944: D1D30018 04622F16
	buffer_load_dword v18, s[20:23], 0 offen offset:896 lds    // 00000000494C: E0511380 80050012
	s_add_u32 m0, 0x380, s35                                   // 000000004954: 807C23FF 00000380
	buffer_load_dword v19, s[20:23], 0 offen offset:896 lds    // 00000000495C: E0511380 80050013
	s_add_u32 m0, 0x400, s34                                   // 000000004964: 807C22FF 00000400
	buffer_load_dword v18, s[20:23], 0 offen offset:1024 lds   // 00000000496C: E0511400 80050012
	s_add_u32 m0, 0x400, s35                                   // 000000004974: 807C23FF 00000400
	ds_read_b128 a[144:147], v7 offset:37120                   // 00000000497C: DBFE9100 90000007
	ds_read_b128 a[148:151], v7 offset:38144                   // 000000004984: DBFE9500 94000007
	buffer_load_dword v19, s[20:23], 0 offen offset:1024 lds   // 00000000498C: E0511400 80050013
	s_add_u32 m0, 0x480, s34                                   // 000000004994: 807C22FF 00000480
	ds_read_b128 a[152:155], v7 offset:39168                   // 00000000499C: DBFE9900 98000007
	ds_read_b128 a[156:159], v7 offset:40192                   // 0000000049A4: DBFE9D00 9C000007
	ds_read_b128 a[160:163], v7 offset:41216                   // 0000000049AC: DBFEA100 A0000007
	ds_read_b128 a[164:167], v7 offset:42240                   // 0000000049B4: DBFEA500 A4000007
	ds_read_b128 a[168:171], v7 offset:43264                   // 0000000049BC: DBFEA900 A8000007
	ds_read_b128 a[172:175], v7 offset:44288                   // 0000000049C4: DBFEAD00 AC000007
	v_mov_b32_e32 v25, 0xff7fffff                              // 0000000049CC: 7E3202FF FF7FFFFF
	v_cmp_eq_u32_e64 s[38:39], v25, v12                        // 0000000049D4: D0CA0026 00021919
	v_max_f32_e32 v20, v24, v12                                // 0000000049DC: 16281918
	v_sub_f32_e32 v16, v12, v20                                // 0000000049E0: 0420290C
	v_cndmask_b32_e64 v16, v16, 0, s[38:39]                    // 0000000049E4: D1000010 00990110
	v_mov_b32_e32 v12, v20                                     // 0000000049EC: 7E180314
	v_mul_f32_e32 v21, s5, v20                                 // 0000000049F0: 0A2A2805
	v_mul_f32_e32 v16, s5, v16                                 // 0000000049F4: 0A202005
	v_exp_f32_e32 v16, v16                                     // 0000000049F8: 7E204110
	v_fma_f32 v32, v32, s5, -v21                               // 0000000049FC: D1CB0020 84540B20
	v_fma_f32 v33, v33, s5, -v21                               // 000000004A04: D1CB0021 84540B21
	v_fma_f32 v34, v34, s5, -v21                               // 000000004A0C: D1CB0022 84540B22
	v_fma_f32 v35, v35, s5, -v21                               // 000000004A14: D1CB0023 84540B23
	v_exp_f32_e32 v32, v32                                     // 000000004A1C: 7E404120
	v_exp_f32_e32 v33, v33                                     // 000000004A20: 7E424121
	v_exp_f32_e32 v34, v34                                     // 000000004A24: 7E444122
	v_exp_f32_e32 v35, v35                                     // 000000004A28: 7E464123
	v_mul_f32_e32 v14, v16, v14                                // 000000004A2C: 0A1C1D10
	v_mov_b32_e32 v22, v32                                     // 000000004A30: 7E2C0320
	v_add_f32_e32 v22, v33, v22                                // 000000004A34: 022C2D21
	v_add_f32_e32 v22, v34, v22                                // 000000004A38: 022C2D22
	v_add_f32_e32 v22, v35, v22                                // 000000004A3C: 022C2D23
	v_add_f32_e32 v14, v22, v14                                // 000000004A40: 021C1D16
	v_mov_b32_e32 v29, 0xffff0000                              // 000000004A44: 7E3A02FF FFFF0000
	v_mov_b32_e32 v30, 0x7fff0000                              // 000000004A4C: 7E3C02FF 7FFF0000
	v_mov_b32_e32 v31, 0x7fff                                  // 000000004A54: 7E3E02FF 00007FFF
	v_cmp_u_f32_e64 s[38:39], v32, v32                         // 000000004A5C: D0480026 00024120
	v_add3_u32 v28, v32, v31, 1                                // 000000004A64: D1FF001C 02063F20
	v_cndmask_b32_e64 v20, v28, v30, s[38:39]                  // 000000004A6C: D1000014 009A3D1C
	v_cmp_u_f32_e64 s[38:39], v33, v33                         // 000000004A74: D0480026 00024321
	v_add3_u32 v28, v33, v31, 1                                // 000000004A7C: D1FF001C 02063F21
	v_cndmask_b32_e64 v21, v28, v30, s[38:39]                  // 000000004A84: D1000015 009A3D1C
	v_perm_b32 v32, v21, v20, s52                              // 000000004A8C: D1ED0020 00D22915
	v_cmp_u_f32_e64 s[38:39], v34, v34                         // 000000004A94: D0480026 00024522
	v_add3_u32 v28, v34, v31, 1                                // 000000004A9C: D1FF001C 02063F22
	v_cndmask_b32_e64 v20, v28, v30, s[38:39]                  // 000000004AA4: D1000014 009A3D1C
	v_cmp_u_f32_e64 s[38:39], v35, v35                         // 000000004AAC: D0480026 00024723
	v_add3_u32 v28, v35, v31, 1                                // 000000004AB4: D1FF001C 02063F23
	v_cndmask_b32_e64 v21, v28, v30, s[38:39]                  // 000000004ABC: D1000015 009A3D1C
	v_perm_b32 v33, v21, v20, s52                              // 000000004AC4: D1ED0021 00D22915
	s_nop 2                                                    // 000000004ACC: BF800002
	v_mul_u32_u24_dpp v18, v11, v9 row_newbcast:0 row_mask:0xf bank_mask:0xf// 000000004AD0: 102412FA FF01500B
	v_mul_u32_u24_dpp v19, v11, v9 row_newbcast:8 row_mask:0xf bank_mask:0xf// 000000004AD8: 102612FA FF01580B
	v_add_u32_e32 v18, v18, v1                                 // 000000004AE0: 68240312
	v_add_u32_e32 v19, v19, v1                                 // 000000004AE4: 68260313
	s_mov_b32 m0, s36                                          // 000000004AE8: BEFC0024
	v_mov_b32_e32 v22, v16                                     // 000000004AEC: 7E2C0310
	v_mov_b32_e32 v23, v16                                     // 000000004AF0: 7E2E0310
	v_pk_mul_f32 v[40:41], v[22:23], v[40:41]                  // 000000004AF4: D3B14028 18025116
	v_pk_mul_f32 v[42:43], v[22:23], v[42:43]                  // 000000004AFC: D3B1402A 18025516
	v_pk_mul_f32 v[44:45], v[22:23], v[44:45]                  // 000000004B04: D3B1402C 18025916
	v_pk_mul_f32 v[46:47], v[22:23], v[46:47]                  // 000000004B0C: D3B1402E 18025D16
	v_pk_mul_f32 v[48:49], v[22:23], v[48:49]                  // 000000004B14: D3B14030 18026116
	v_pk_mul_f32 v[50:51], v[22:23], v[50:51]                  // 000000004B1C: D3B14032 18026516
	v_pk_mul_f32 v[52:53], v[22:23], v[52:53]                  // 000000004B24: D3B14034 18026916
	v_pk_mul_f32 v[54:55], v[22:23], v[54:55]                  // 000000004B2C: D3B14036 18026D16
	v_pk_mul_f32 v[56:57], v[22:23], v[56:57]                  // 000000004B34: D3B14038 18027116
	v_pk_mul_f32 v[58:59], v[22:23], v[58:59]                  // 000000004B3C: D3B1403A 18027516
	v_pk_mul_f32 v[60:61], v[22:23], v[60:61]                  // 000000004B44: D3B1403C 18027916
	v_pk_mul_f32 v[62:63], v[22:23], v[62:63]                  // 000000004B4C: D3B1403E 18027D16
	v_pk_mul_f32 v[64:65], v[22:23], v[64:65]                  // 000000004B54: D3B14040 18028116
	v_pk_mul_f32 v[66:67], v[22:23], v[66:67]                  // 000000004B5C: D3B14042 18028516
	v_pk_mul_f32 v[68:69], v[22:23], v[68:69]                  // 000000004B64: D3B14044 18028916
	v_pk_mul_f32 v[70:71], v[22:23], v[70:71]                  // 000000004B6C: D3B14046 18028D16
	v_pk_mul_f32 v[72:73], v[22:23], v[72:73]                  // 000000004B74: D3B14048 18029116
	v_pk_mul_f32 v[74:75], v[22:23], v[74:75]                  // 000000004B7C: D3B1404A 18029516
	v_pk_mul_f32 v[76:77], v[22:23], v[76:77]                  // 000000004B84: D3B1404C 18029916
	v_pk_mul_f32 v[78:79], v[22:23], v[78:79]                  // 000000004B8C: D3B1404E 18029D16
	v_pk_mul_f32 v[80:81], v[22:23], v[80:81]                  // 000000004B94: D3B14050 1802A116
	v_pk_mul_f32 v[82:83], v[22:23], v[82:83]                  // 000000004B9C: D3B14052 1802A516
	v_pk_mul_f32 v[84:85], v[22:23], v[84:85]                  // 000000004BA4: D3B14054 1802A916
	v_pk_mul_f32 v[86:87], v[22:23], v[86:87]                  // 000000004BAC: D3B14056 1802AD16
	v_pk_mul_f32 v[88:89], v[22:23], v[88:89]                  // 000000004BB4: D3B14058 1802B116
	v_pk_mul_f32 v[90:91], v[22:23], v[90:91]                  // 000000004BBC: D3B1405A 1802B516
	v_pk_mul_f32 v[92:93], v[22:23], v[92:93]                  // 000000004BC4: D3B1405C 1802B916
	v_pk_mul_f32 v[94:95], v[22:23], v[94:95]                  // 000000004BCC: D3B1405E 1802BD16
	v_pk_mul_f32 v[96:97], v[22:23], v[96:97]                  // 000000004BD4: D3B14060 1802C116
	v_pk_mul_f32 v[98:99], v[22:23], v[98:99]                  // 000000004BDC: D3B14062 1802C516
	v_pk_mul_f32 v[100:101], v[22:23], v[100:101]              // 000000004BE4: D3B14064 1802C916
	v_pk_mul_f32 v[102:103], v[22:23], v[102:103]              // 000000004BEC: D3B14066 1802CD16
	v_pk_mul_f32 v[104:105], v[22:23], v[104:105]              // 000000004BF4: D3B14068 1802D116
	v_pk_mul_f32 v[106:107], v[22:23], v[106:107]              // 000000004BFC: D3B1406A 1802D516
	v_pk_mul_f32 v[108:109], v[22:23], v[108:109]              // 000000004C04: D3B1406C 1802D916
	v_pk_mul_f32 v[110:111], v[22:23], v[110:111]              // 000000004C0C: D3B1406E 1802DD16
	v_pk_mul_f32 v[112:113], v[22:23], v[112:113]              // 000000004C14: D3B14070 1802E116
	v_pk_mul_f32 v[114:115], v[22:23], v[114:115]              // 000000004C1C: D3B14072 1802E516
	v_pk_mul_f32 v[116:117], v[22:23], v[116:117]              // 000000004C24: D3B14074 1802E916
	v_pk_mul_f32 v[118:119], v[22:23], v[118:119]              // 000000004C2C: D3B14076 1802ED16
	v_pk_mul_f32 v[120:121], v[22:23], v[120:121]              // 000000004C34: D3B14078 1802F116
	v_pk_mul_f32 v[122:123], v[22:23], v[122:123]              // 000000004C3C: D3B1407A 1802F516
	v_pk_mul_f32 v[124:125], v[22:23], v[124:125]              // 000000004C44: D3B1407C 1802F916
	v_pk_mul_f32 v[126:127], v[22:23], v[126:127]              // 000000004C4C: D3B1407E 1802FD16
	v_pk_mul_f32 v[128:129], v[22:23], v[128:129]              // 000000004C54: D3B14080 18030116
	v_pk_mul_f32 v[130:131], v[22:23], v[130:131]              // 000000004C5C: D3B14082 18030516
	v_pk_mul_f32 v[132:133], v[22:23], v[132:133]              // 000000004C64: D3B14084 18030916
	v_pk_mul_f32 v[134:135], v[22:23], v[134:135]              // 000000004C6C: D3B14086 18030D16
	v_pk_mul_f32 v[136:137], v[22:23], v[136:137]              // 000000004C74: D3B14088 18031116
	v_pk_mul_f32 v[138:139], v[22:23], v[138:139]              // 000000004C7C: D3B1408A 18031516
	v_pk_mul_f32 v[140:141], v[22:23], v[140:141]              // 000000004C84: D3B1408C 18031916
	v_pk_mul_f32 v[142:143], v[22:23], v[142:143]              // 000000004C8C: D3B1408E 18031D16
	v_pk_mul_f32 v[144:145], v[22:23], v[144:145]              // 000000004C94: D3B14090 18032116
	v_pk_mul_f32 v[146:147], v[22:23], v[146:147]              // 000000004C9C: D3B14092 18032516
	v_pk_mul_f32 v[148:149], v[22:23], v[148:149]              // 000000004CA4: D3B14094 18032916
	v_pk_mul_f32 v[150:151], v[22:23], v[150:151]              // 000000004CAC: D3B14096 18032D16
	v_pk_mul_f32 v[152:153], v[22:23], v[152:153]              // 000000004CB4: D3B14098 18033116
	v_pk_mul_f32 v[154:155], v[22:23], v[154:155]              // 000000004CBC: D3B1409A 18033516
	v_pk_mul_f32 v[156:157], v[22:23], v[156:157]              // 000000004CC4: D3B1409C 18033916
	v_pk_mul_f32 v[158:159], v[22:23], v[158:159]              // 000000004CCC: D3B1409E 18033D16
	v_pk_mul_f32 v[160:161], v[22:23], v[160:161]              // 000000004CD4: D3B140A0 18034116
	v_pk_mul_f32 v[162:163], v[22:23], v[162:163]              // 000000004CDC: D3B140A2 18034516
	v_pk_mul_f32 v[164:165], v[22:23], v[164:165]              // 000000004CE4: D3B140A4 18034916
	v_pk_mul_f32 v[166:167], v[22:23], v[166:167]              // 000000004CEC: D3B140A6 18034D16
	s_waitcnt lgkmcnt(0)                                       // 000000004CF4: BF8CC07F
	v_mfma_f32_16x16x16_bf16 v[40:43], a[144:145], v[32:33], v[40:43]// 000000004CF8: D3E10028 0CA24190
	v_mfma_f32_16x16x16_bf16 v[44:47], a[146:147], v[32:33], v[44:47]// 000000004D00: D3E1002C 0CB24192
	ds_read_b128 a[176:179], v7 offset:45312                   // 000000004D08: DBFEB100 B0000007
	ds_read_b128 a[180:183], v7 offset:46336                   // 000000004D10: DBFEB500 B4000007
	v_mfma_f32_16x16x16_bf16 v[48:51], a[148:149], v[32:33], v[48:51]// 000000004D18: D3E10030 0CC24194
	v_mfma_f32_16x16x16_bf16 v[52:55], a[150:151], v[32:33], v[52:55]// 000000004D20: D3E10034 0CD24196
	v_mfma_f32_16x16x16_bf16 v[56:59], a[152:153], v[32:33], v[56:59]// 000000004D28: D3E10038 0CE24198
	v_mfma_f32_16x16x16_bf16 v[60:63], a[154:155], v[32:33], v[60:63]// 000000004D30: D3E1003C 0CF2419A
	ds_read_b128 a[184:187], v7 offset:47360                   // 000000004D38: DBFEB900 B8000007
	ds_read_b128 a[188:191], v7 offset:48384                   // 000000004D40: DBFEBD00 BC000007
	v_mfma_f32_16x16x16_bf16 v[64:67], a[156:157], v[32:33], v[64:67]// 000000004D48: D3E10040 0D02419C
	v_mfma_f32_16x16x16_bf16 v[68:71], a[158:159], v[32:33], v[68:71]// 000000004D50: D3E10044 0D12419E
	v_mfma_f32_16x16x16_bf16 v[72:75], a[160:161], v[32:33], v[72:75]// 000000004D58: D3E10048 0D2241A0
	v_mfma_f32_16x16x16_bf16 v[76:79], a[162:163], v[32:33], v[76:79]// 000000004D60: D3E1004C 0D3241A2
	ds_read_b128 a[192:195], v7 offset:49408                   // 000000004D68: DBFEC100 C0000007
	ds_read_b128 a[196:199], v7 offset:50432                   // 000000004D70: DBFEC500 C4000007
	v_mfma_f32_16x16x16_bf16 v[80:83], a[164:165], v[32:33], v[80:83]// 000000004D78: D3E10050 0D4241A4
	v_mfma_f32_16x16x16_bf16 v[84:87], a[166:167], v[32:33], v[84:87]// 000000004D80: D3E10054 0D5241A6
	v_mfma_f32_16x16x16_bf16 v[88:91], a[168:169], v[32:33], v[88:91]// 000000004D88: D3E10058 0D6241A8
	v_mfma_f32_16x16x16_bf16 v[92:95], a[170:171], v[32:33], v[92:95]// 000000004D90: D3E1005C 0D7241AA
	ds_read_b128 a[200:203], v7 offset:51456                   // 000000004D98: DBFEC900 C8000007
	ds_read_b128 a[204:207], v7 offset:52480                   // 000000004DA0: DBFECD00 CC000007
	v_mfma_f32_16x16x16_bf16 v[96:99], a[172:173], v[32:33], v[96:99]// 000000004DA8: D3E10060 0D8241AC
	v_mfma_f32_16x16x16_bf16 v[100:103], a[174:175], v[32:33], v[100:103]// 000000004DB0: D3E10064 0D9241AE
	s_waitcnt lgkmcnt(4)                                       // 000000004DB8: BF8CC47F
	v_mfma_f32_16x16x16_bf16 v[104:107], a[176:177], v[32:33], v[104:107]// 000000004DBC: D3E10068 0DA241B0
	v_mfma_f32_16x16x16_bf16 v[108:111], a[178:179], v[32:33], v[108:111]// 000000004DC4: D3E1006C 0DB241B2
	v_mfma_f32_16x16x16_bf16 v[112:115], a[180:181], v[32:33], v[112:115]// 000000004DCC: D3E10070 0DC241B4
	s_waitcnt vmcnt(18) lgkmcnt(0)                             // 000000004DD4: BF8C4072
	s_barrier                                                  // 000000004DD8: BF8A0000
	v_mfma_f32_16x16x16_bf16 v[116:119], a[182:183], v[32:33], v[116:119]// 000000004DDC: D3E10074 0DD241B6
	ds_read_b64 v[20:21], v5 offset:18560                      // 000000004DE4: D8EC4880 14000005
	ds_read_b64 v[22:23], v5 offset:23200                      // 000000004DEC: D8EC5AA0 16000005
	v_mfma_f32_16x16x16_bf16 v[120:123], a[184:185], v[32:33], v[120:123]// 000000004DF4: D3E10078 0DE241B8
	ds_read_b64 v[24:25], v5 offset:27840                      // 000000004DFC: D8EC6CC0 18000005
	ds_read_b64 v[26:27], v5 offset:32480                      // 000000004E04: D8EC7EE0 1A000005
	v_mfma_f32_16x16x16_bf16 v[124:127], a[186:187], v[32:33], v[124:127]// 000000004E0C: D3E1007C 0DF241BA
	ds_read_b128 a[144:147], v4 offset:18560                   // 000000004E14: DBFE4880 90000004
	v_mfma_f32_16x16x16_bf16 v[128:131], a[188:189], v[32:33], v[128:131]// 000000004E1C: D3E10080 0E0241BC
	ds_read_b128 a[148:151], v4 offset:18624                   // 000000004E24: DBFE48C0 94000004
	v_mfma_f32_16x16x16_bf16 v[132:135], a[190:191], v[32:33], v[132:135]// 000000004E2C: D3E10084 0E1241BE
	ds_read_b128 a[152:155], v4 offset:18816                   // 000000004E34: DBFE4980 98000004
	v_mfma_f32_16x16x16_bf16 v[136:139], a[192:193], v[32:33], v[136:139]// 000000004E3C: D3E10088 0E2241C0
	ds_read_b128 a[156:159], v4 offset:18880                   // 000000004E44: DBFE49C0 9C000004
	v_mfma_f32_16x16x16_bf16 v[140:143], a[194:195], v[32:33], v[140:143]// 000000004E4C: D3E1008C 0E3241C2
	ds_read_b128 a[160:163], v4 offset:19072                   // 000000004E54: DBFE4A80 A0000004
	v_mfma_f32_16x16x16_bf16 v[144:147], a[196:197], v[32:33], v[144:147]// 000000004E5C: D3E10090 0E4241C4
	ds_read_b128 a[164:167], v4 offset:19136                   // 000000004E64: DBFE4AC0 A4000004
	v_mfma_f32_16x16x16_bf16 v[148:151], a[198:199], v[32:33], v[148:151]// 000000004E6C: D3E10094 0E5241C6
	ds_read_b128 a[168:171], v4 offset:19328                   // 000000004E74: DBFE4B80 A8000004
	v_mfma_f32_16x16x16_bf16 v[152:155], a[200:201], v[32:33], v[152:155]// 000000004E7C: D3E10098 0E6241C8
	ds_read_b128 a[172:175], v4 offset:19392                   // 000000004E84: DBFE4BC0 AC000004
	v_mfma_f32_16x16x16_bf16 v[156:159], a[202:203], v[32:33], v[156:159]// 000000004E8C: D3E1009C 0E7241CA
	s_waitcnt lgkmcnt(8)                                       // 000000004E94: BF8CC87F
	v_perm_b32 v168, v22, v20, s53                             // 000000004E98: D1ED00A8 00D62916
	v_perm_b32 v170, v22, v20, s52                             // 000000004EA0: D1ED00AA 00D22916
	v_perm_b32 v169, v26, v24, s53                             // 000000004EA8: D1ED00A9 00D6311A
	v_perm_b32 v171, v26, v24, s52                             // 000000004EB0: D1ED00AB 00D2311A
	v_mfma_f32_16x16x16_bf16 v[160:163], a[204:205], v[32:33], v[160:163]// 000000004EB8: D3E100A0 0E8241CC
	ds_write_b128 v6, v[168:171] offset:37120                  // 000000004EC0: D9BE9100 0000A806
	v_perm_b32 v168, v23, v21, s53                             // 000000004EC8: D1ED00A8 00D62B17
	v_perm_b32 v170, v23, v21, s52                             // 000000004ED0: D1ED00AA 00D22B17
	v_perm_b32 v169, v27, v25, s53                             // 000000004ED8: D1ED00A9 00D6331B
	v_perm_b32 v171, v27, v25, s52                             // 000000004EE0: D1ED00AB 00D2331B
	v_mfma_f32_16x16x16_bf16 v[164:167], a[206:207], v[32:33], v[164:167]// 000000004EE8: D3E100A4 0E9241CE
	ds_write_b128 v6, v[168:171] offset:38144                  // 000000004EF0: D9BE9500 0000A806
	ds_read_b64 v[20:21], v5 offset:19584                      // 000000004EF8: D8EC4C80 14000005
	ds_read_b64 v[22:23], v5 offset:24224                      // 000000004F00: D8EC5EA0 16000005
	ds_read_b64 v[24:25], v5 offset:28864                      // 000000004F08: D8EC70C0 18000005
	ds_read_b64 v[26:27], v5 offset:33504                      // 000000004F10: D8EC82E0 1A000005
	s_nop 0                                                    // 000000004F18: BF800000
	s_addk_i32 s70, 0x1                                        // 000000004F1C: B7460001
	s_cmp_lt_i32 s70, s71                                      // 000000004F20: BF044746
	s_cbranch_scc0 label_08CB                                  // 000000004F24: BF84FDC1
	s_waitcnt lgkmcnt(4)                                       // 000000004F28: BF8CC47F
	v_mfma_f32_16x16x16_bf16 v[32:35], a[144:145], a[0:1], 0   // 000000004F2C: D3E10020 1A020190
	buffer_load_dword v11, v8, s[24:27], 0 offen               // 000000004F34: E0501000 80060B08
	v_mfma_f32_16x16x16_bf16 v[32:35], a[146:147], a[2:3], v[32:35]// 000000004F3C: D3E10020 1C820592
	ds_read_b128 a[176:179], v4 offset:19584                   // 000000004F44: DBFE4C80 B0000004
	ds_read_b128 a[180:183], v4 offset:19648                   // 000000004F4C: DBFE4CC0 B4000004
	v_mfma_f32_16x16x16_bf16 v[32:35], a[148:149], a[4:5], v[32:35]// 000000004F54: D3E10020 1C820994
	v_mfma_f32_16x16x16_bf16 v[32:35], a[150:151], a[6:7], v[32:35]// 000000004F5C: D3E10020 1C820D96
	v_mfma_f32_16x16x16_bf16 v[32:35], a[152:153], a[8:9], v[32:35]// 000000004F64: D3E10020 1C821198
	v_mfma_f32_16x16x16_bf16 v[32:35], a[154:155], a[10:11], v[32:35]// 000000004F6C: D3E10020 1C82159A
	ds_read_b128 a[184:187], v4 offset:19840                   // 000000004F74: DBFE4D80 B8000004
	ds_read_b128 a[188:191], v4 offset:19904                   // 000000004F7C: DBFE4DC0 BC000004
	v_mfma_f32_16x16x16_bf16 v[32:35], a[156:157], a[12:13], v[32:35]// 000000004F84: D3E10020 1C82199C
	v_mfma_f32_16x16x16_bf16 v[32:35], a[158:159], a[14:15], v[32:35]// 000000004F8C: D3E10020 1C821D9E
	s_waitcnt lgkmcnt(4)                                       // 000000004F94: BF8CC47F
	v_mfma_f32_16x16x16_bf16 v[32:35], a[160:161], a[16:17], v[32:35]// 000000004F98: D3E10020 1C8221A0
	v_mfma_f32_16x16x16_bf16 v[32:35], a[162:163], a[18:19], v[32:35]// 000000004FA0: D3E10020 1C8225A2
	ds_read_b128 a[192:195], v4 offset:20096                   // 000000004FA8: DBFE4E80 C0000004
	ds_read_b128 a[196:199], v4 offset:20160                   // 000000004FB0: DBFE4EC0 C4000004
	v_mfma_f32_16x16x16_bf16 v[32:35], a[164:165], a[20:21], v[32:35]// 000000004FB8: D3E10020 1C8229A4
	v_mfma_f32_16x16x16_bf16 v[32:35], a[166:167], a[22:23], v[32:35]// 000000004FC0: D3E10020 1C822DA6
	v_mfma_f32_16x16x16_bf16 v[32:35], a[168:169], a[24:25], v[32:35]// 000000004FC8: D3E10020 1C8231A8
	v_mfma_f32_16x16x16_bf16 v[32:35], a[170:171], a[26:27], v[32:35]// 000000004FD0: D3E10020 1C8235AA
	ds_read_b128 a[200:203], v4 offset:20352                   // 000000004FD8: DBFE4F80 C8000004
	ds_read_b128 a[204:207], v4 offset:20416                   // 000000004FE0: DBFE4FC0 CC000004
	v_mfma_f32_16x16x16_bf16 v[32:35], a[172:173], a[28:29], v[32:35]// 000000004FE8: D3E10020 1C8239AC
	v_mfma_f32_16x16x16_bf16 v[32:35], a[174:175], a[30:31], v[32:35]// 000000004FF0: D3E10020 1C823DAE
	s_waitcnt lgkmcnt(4)                                       // 000000004FF8: BF8CC47F
	s_barrier                                                  // 000000004FFC: BF8A0000
	v_mfma_f32_16x16x16_bf16 v[32:35], a[176:177], a[32:33], v[32:35]// 000000005000: D3E10020 1C8241B0
	v_mfma_f32_16x16x16_bf16 v[32:35], a[178:179], a[34:35], v[32:35]// 000000005008: D3E10020 1C8245B2
	ds_read_b128 a[208:211], v4 offset:20608                   // 000000005010: DBFE5080 D0000004
	ds_read_b128 a[212:215], v4 offset:20672                   // 000000005018: DBFE50C0 D4000004
	v_mfma_f32_16x16x16_bf16 v[32:35], a[180:181], a[36:37], v[32:35]// 000000005020: D3E10020 1C8249B4
	buffer_load_dword v18, s[20:23], 0 offen lds               // 000000005028: E0511000 80050012
	s_add_u32 m0, 0, s37                                       // 000000005030: 807C2580
	v_mfma_f32_16x16x16_bf16 v[32:35], a[182:183], a[38:39], v[32:35]// 000000005034: D3E10020 1C824DB6
	v_perm_b32 v168, v22, v20, s53                             // 00000000503C: D1ED00A8 00D62916
	v_perm_b32 v170, v22, v20, s52                             // 000000005044: D1ED00AA 00D22916
	v_perm_b32 v169, v26, v24, s53                             // 00000000504C: D1ED00A9 00D6311A
	v_perm_b32 v171, v26, v24, s52                             // 000000005054: D1ED00AB 00D2311A
	v_mfma_f32_16x16x16_bf16 v[32:35], a[184:185], a[40:41], v[32:35]// 00000000505C: D3E10020 1C8251B8
	buffer_load_dword v19, s[20:23], 0 offen lds               // 000000005064: E0511000 80050013
	s_add_u32 m0, 0x80, s36                                    // 00000000506C: 807C24FF 00000080
	v_mfma_f32_16x16x16_bf16 v[32:35], a[186:187], a[42:43], v[32:35]// 000000005074: D3E10020 1C8255BA
	ds_write_b128 v6, v[168:171] offset:45312                  // 00000000507C: D9BEB100 0000A806
	v_mfma_f32_16x16x16_bf16 v[32:35], a[188:189], a[44:45], v[32:35]// 000000005084: D3E10020 1C8259BC
	buffer_load_dword v18, s[20:23], 0 offen offset:128 lds    // 00000000508C: E0511080 80050012
	s_add_u32 m0, 0x80, s37                                    // 000000005094: 807C25FF 00000080
	v_mfma_f32_16x16x16_bf16 v[32:35], a[190:191], a[46:47], v[32:35]// 00000000509C: D3E10020 1C825DBE
	v_perm_b32 v168, v23, v21, s53                             // 0000000050A4: D1ED00A8 00D62B17
	v_perm_b32 v170, v23, v21, s52                             // 0000000050AC: D1ED00AA 00D22B17
	v_perm_b32 v169, v27, v25, s53                             // 0000000050B4: D1ED00A9 00D6331B
	v_perm_b32 v171, v27, v25, s52                             // 0000000050BC: D1ED00AB 00D2331B
	s_waitcnt lgkmcnt(1)                                       // 0000000050C4: BF8CC17F
	v_mfma_f32_16x16x16_bf16 v[32:35], a[192:193], a[48:49], v[32:35]// 0000000050C8: D3E10020 1C8261C0
	buffer_load_dword v19, s[20:23], 0 offen offset:128 lds    // 0000000050D0: E0511080 80050013
	s_add_u32 m0, 0x100, s36                                   // 0000000050D8: 807C24FF 00000100
	v_mfma_f32_16x16x16_bf16 v[32:35], a[194:195], a[50:51], v[32:35]// 0000000050E0: D3E10020 1C8265C2
	ds_write_b128 v6, v[168:171] offset:46336                  // 0000000050E8: D9BEB500 0000A806
	v_mfma_f32_16x16x16_bf16 v[32:35], a[196:197], a[52:53], v[32:35]// 0000000050F0: D3E10020 1C8269C4
	buffer_load_dword v18, s[20:23], 0 offen offset:256 lds    // 0000000050F8: E0511100 80050012
	s_add_u32 m0, 0x100, s37                                   // 000000005100: 807C25FF 00000100
	v_mfma_f32_16x16x16_bf16 v[32:35], a[198:199], a[54:55], v[32:35]// 000000005108: D3E10020 1C826DC6
	v_mfma_f32_16x16x16_bf16 v[32:35], a[200:201], a[56:57], v[32:35]// 000000005110: D3E10020 1C8271C8
	buffer_load_dword v19, s[20:23], 0 offen offset:256 lds    // 000000005118: E0511100 80050013
	s_add_u32 m0, 0x180, s36                                   // 000000005120: 807C24FF 00000180
	v_mfma_f32_16x16x16_bf16 v[32:35], a[202:203], a[58:59], v[32:35]// 000000005128: D3E10020 1C8275CA
	v_mfma_f32_16x16x16_bf16 v[32:35], a[204:205], a[60:61], v[32:35]// 000000005130: D3E10020 1C8279CC
	buffer_load_dword v18, s[20:23], 0 offen offset:384 lds    // 000000005138: E0511180 80050012
	s_add_u32 m0, 0x180, s37                                   // 000000005140: 807C25FF 00000180
	v_mfma_f32_16x16x16_bf16 v[32:35], a[206:207], a[62:63], v[32:35]// 000000005148: D3E10020 1C827DCE
	v_mfma_f32_16x16x16_bf16 v[32:35], a[208:209], a[64:65], v[32:35]// 000000005150: D3E10020 1C8281D0
	buffer_load_dword v19, s[20:23], 0 offen offset:384 lds    // 000000005158: E0511180 80050013
	s_add_u32 m0, 0x200, s36                                   // 000000005160: 807C24FF 00000200
	v_mfma_f32_16x16x16_bf16 v[32:35], a[210:211], a[66:67], v[32:35]// 000000005168: D3E10020 1C8285D2
	v_mfma_f32_16x16x16_bf16 v[32:35], a[212:213], a[68:69], v[32:35]// 000000005170: D3E10020 1C8289D4
	buffer_load_dword v18, s[20:23], 0 offen offset:512 lds    // 000000005178: E0511200 80050012
	s_add_u32 m0, 0x200, s37                                   // 000000005180: 807C25FF 00000200
	v_mfma_f32_16x16x16_bf16 v[32:35], a[214:215], a[70:71], v[32:35]// 000000005188: D3E10020 1C828DD6
	v_add_u32_e32 v8, s73, v8                                  // 000000005190: 68101049
	s_waitcnt lgkmcnt(0)                                       // 000000005194: BF8CC07F
	s_barrier                                                  // 000000005198: BF8A0000
	v_max3_f32 v24, v32, v33, v32                              // 00000000519C: D1D30018 04824320
	v_max3_f32 v24, v34, v35, v24                              // 0000000051A4: D1D30018 04624722
	ds_write_b32 v3, v24 offset:53504                          // 0000000051AC: D81AD100 00001803
	buffer_load_dword v19, s[20:23], 0 offen offset:512 lds    // 0000000051B4: E0511200 80050013
	s_add_u32 m0, 0x280, s36                                   // 0000000051BC: 807C24FF 00000280
	buffer_load_dword v18, s[20:23], 0 offen offset:640 lds    // 0000000051C4: E0511280 80050012
	s_add_u32 m0, 0x280, s37                                   // 0000000051CC: 807C25FF 00000280
	s_waitcnt lgkmcnt(0)                                       // 0000000051D4: BF8CC07F
	ds_read_b32 v20, v2 offset:53504                           // 0000000051D8: D86CD100 14000002
	ds_read_b32 v21, v2 offset:53568                           // 0000000051E0: D86CD140 15000002
	ds_read_b32 v22, v2 offset:53632                           // 0000000051E8: D86CD180 16000002
	ds_read_b32 v23, v2 offset:53696                           // 0000000051F0: D86CD1C0 17000002
	buffer_load_dword v19, s[20:23], 0 offen offset:640 lds    // 0000000051F8: E0511280 80050013
	s_add_u32 m0, 0x300, s36                                   // 000000005200: 807C24FF 00000300
	buffer_load_dword v18, s[20:23], 0 offen offset:768 lds    // 000000005208: E0511300 80050012
	s_add_u32 m0, 0x300, s37                                   // 000000005210: 807C25FF 00000300
	buffer_load_dword v19, s[20:23], 0 offen offset:768 lds    // 000000005218: E0511300 80050013
	s_add_u32 m0, 0x380, s36                                   // 000000005220: 807C24FF 00000380
	s_waitcnt lgkmcnt(0)                                       // 000000005228: BF8CC07F
	v_max3_f32 v24, v20, v21, v24                              // 00000000522C: D1D30018 04622B14
	v_max3_f32 v24, v22, v23, v24                              // 000000005234: D1D30018 04622F16
	buffer_load_dword v18, s[20:23], 0 offen offset:896 lds    // 00000000523C: E0511380 80050012
	s_add_u32 m0, 0x380, s37                                   // 000000005244: 807C25FF 00000380
	buffer_load_dword v19, s[20:23], 0 offen offset:896 lds    // 00000000524C: E0511380 80050013
	s_add_u32 m0, 0x400, s36                                   // 000000005254: 807C24FF 00000400
	buffer_load_dword v18, s[20:23], 0 offen offset:1024 lds   // 00000000525C: E0511400 80050012
	s_add_u32 m0, 0x400, s37                                   // 000000005264: 807C25FF 00000400
	ds_read_b128 a[144:147], v7 offset:37120                   // 00000000526C: DBFE9100 90000007
	ds_read_b128 a[148:151], v7 offset:38144                   // 000000005274: DBFE9500 94000007
	buffer_load_dword v19, s[20:23], 0 offen offset:1024 lds   // 00000000527C: E0511400 80050013
	s_add_u32 m0, 0x480, s36                                   // 000000005284: 807C24FF 00000480
	ds_read_b128 a[152:155], v7 offset:39168                   // 00000000528C: DBFE9900 98000007
	ds_read_b128 a[156:159], v7 offset:40192                   // 000000005294: DBFE9D00 9C000007
	ds_read_b128 a[160:163], v7 offset:41216                   // 00000000529C: DBFEA100 A0000007
	ds_read_b128 a[164:167], v7 offset:42240                   // 0000000052A4: DBFEA500 A4000007
	ds_read_b128 a[168:171], v7 offset:43264                   // 0000000052AC: DBFEA900 A8000007
	ds_read_b128 a[172:175], v7 offset:44288                   // 0000000052B4: DBFEAD00 AC000007
	v_mov_b32_e32 v25, 0xff7fffff                              // 0000000052BC: 7E3202FF FF7FFFFF
	v_cmp_eq_u32_e64 s[38:39], v25, v12                        // 0000000052C4: D0CA0026 00021919
	v_max_f32_e32 v20, v24, v12                                // 0000000052CC: 16281918
	v_sub_f32_e32 v16, v12, v20                                // 0000000052D0: 0420290C
	v_cndmask_b32_e64 v16, v16, 0, s[38:39]                    // 0000000052D4: D1000010 00990110
	v_mov_b32_e32 v12, v20                                     // 0000000052DC: 7E180314
	v_mul_f32_e32 v21, s5, v20                                 // 0000000052E0: 0A2A2805
	v_mul_f32_e32 v16, s5, v16                                 // 0000000052E4: 0A202005
	v_exp_f32_e32 v16, v16                                     // 0000000052E8: 7E204110
	v_fma_f32 v32, v32, s5, -v21                               // 0000000052EC: D1CB0020 84540B20
	v_fma_f32 v33, v33, s5, -v21                               // 0000000052F4: D1CB0021 84540B21
	v_fma_f32 v34, v34, s5, -v21                               // 0000000052FC: D1CB0022 84540B22
	v_fma_f32 v35, v35, s5, -v21                               // 000000005304: D1CB0023 84540B23
	v_exp_f32_e32 v32, v32                                     // 00000000530C: 7E404120
	v_exp_f32_e32 v33, v33                                     // 000000005310: 7E424121
	v_exp_f32_e32 v34, v34                                     // 000000005314: 7E444122
	v_exp_f32_e32 v35, v35                                     // 000000005318: 7E464123
	v_mul_f32_e32 v14, v16, v14                                // 00000000531C: 0A1C1D10
	v_mov_b32_e32 v22, v32                                     // 000000005320: 7E2C0320
	v_add_f32_e32 v22, v33, v22                                // 000000005324: 022C2D21
	v_add_f32_e32 v22, v34, v22                                // 000000005328: 022C2D22
	v_add_f32_e32 v22, v35, v22                                // 00000000532C: 022C2D23
	v_add_f32_e32 v14, v22, v14                                // 000000005330: 021C1D16
	v_mov_b32_e32 v29, 0xffff0000                              // 000000005334: 7E3A02FF FFFF0000
	v_mov_b32_e32 v30, 0x7fff0000                              // 00000000533C: 7E3C02FF 7FFF0000
	v_mov_b32_e32 v31, 0x7fff                                  // 000000005344: 7E3E02FF 00007FFF
	v_cmp_u_f32_e64 s[38:39], v32, v32                         // 00000000534C: D0480026 00024120
	v_add3_u32 v28, v32, v31, 1                                // 000000005354: D1FF001C 02063F20
	v_cndmask_b32_e64 v20, v28, v30, s[38:39]                  // 00000000535C: D1000014 009A3D1C
	v_cmp_u_f32_e64 s[38:39], v33, v33                         // 000000005364: D0480026 00024321
	v_add3_u32 v28, v33, v31, 1                                // 00000000536C: D1FF001C 02063F21
	v_cndmask_b32_e64 v21, v28, v30, s[38:39]                  // 000000005374: D1000015 009A3D1C
	v_perm_b32 v32, v21, v20, s52                              // 00000000537C: D1ED0020 00D22915
	v_cmp_u_f32_e64 s[38:39], v34, v34                         // 000000005384: D0480026 00024522
	v_add3_u32 v28, v34, v31, 1                                // 00000000538C: D1FF001C 02063F22
	v_cndmask_b32_e64 v20, v28, v30, s[38:39]                  // 000000005394: D1000014 009A3D1C
	v_cmp_u_f32_e64 s[38:39], v35, v35                         // 00000000539C: D0480026 00024723
	v_add3_u32 v28, v35, v31, 1                                // 0000000053A4: D1FF001C 02063F23
	v_cndmask_b32_e64 v21, v28, v30, s[38:39]                  // 0000000053AC: D1000015 009A3D1C
	v_perm_b32 v33, v21, v20, s52                              // 0000000053B4: D1ED0021 00D22915
	s_nop 2                                                    // 0000000053BC: BF800002
	v_mul_u32_u24_dpp v18, v10, v9 row_newbcast:0 row_mask:0xf bank_mask:0xf// 0000000053C0: 102412FA FF01500A
	v_mul_u32_u24_dpp v19, v10, v9 row_newbcast:8 row_mask:0xf bank_mask:0xf// 0000000053C8: 102612FA FF01580A
	v_add_u32_e32 v18, v18, v1                                 // 0000000053D0: 68240312
	v_add_u32_e32 v19, v19, v1                                 // 0000000053D4: 68260313
	s_mov_b32 m0, s34                                          // 0000000053D8: BEFC0022
	v_mov_b32_e32 v22, v16                                     // 0000000053DC: 7E2C0310
	v_mov_b32_e32 v23, v16                                     // 0000000053E0: 7E2E0310
	v_pk_mul_f32 v[40:41], v[22:23], v[40:41]                  // 0000000053E4: D3B14028 18025116
	v_pk_mul_f32 v[42:43], v[22:23], v[42:43]                  // 0000000053EC: D3B1402A 18025516
	v_pk_mul_f32 v[44:45], v[22:23], v[44:45]                  // 0000000053F4: D3B1402C 18025916
	v_pk_mul_f32 v[46:47], v[22:23], v[46:47]                  // 0000000053FC: D3B1402E 18025D16
	v_pk_mul_f32 v[48:49], v[22:23], v[48:49]                  // 000000005404: D3B14030 18026116
	v_pk_mul_f32 v[50:51], v[22:23], v[50:51]                  // 00000000540C: D3B14032 18026516
	v_pk_mul_f32 v[52:53], v[22:23], v[52:53]                  // 000000005414: D3B14034 18026916
	v_pk_mul_f32 v[54:55], v[22:23], v[54:55]                  // 00000000541C: D3B14036 18026D16
	v_pk_mul_f32 v[56:57], v[22:23], v[56:57]                  // 000000005424: D3B14038 18027116
	v_pk_mul_f32 v[58:59], v[22:23], v[58:59]                  // 00000000542C: D3B1403A 18027516
	v_pk_mul_f32 v[60:61], v[22:23], v[60:61]                  // 000000005434: D3B1403C 18027916
	v_pk_mul_f32 v[62:63], v[22:23], v[62:63]                  // 00000000543C: D3B1403E 18027D16
	v_pk_mul_f32 v[64:65], v[22:23], v[64:65]                  // 000000005444: D3B14040 18028116
	v_pk_mul_f32 v[66:67], v[22:23], v[66:67]                  // 00000000544C: D3B14042 18028516
	v_pk_mul_f32 v[68:69], v[22:23], v[68:69]                  // 000000005454: D3B14044 18028916
	v_pk_mul_f32 v[70:71], v[22:23], v[70:71]                  // 00000000545C: D3B14046 18028D16
	v_pk_mul_f32 v[72:73], v[22:23], v[72:73]                  // 000000005464: D3B14048 18029116
	v_pk_mul_f32 v[74:75], v[22:23], v[74:75]                  // 00000000546C: D3B1404A 18029516
	v_pk_mul_f32 v[76:77], v[22:23], v[76:77]                  // 000000005474: D3B1404C 18029916
	v_pk_mul_f32 v[78:79], v[22:23], v[78:79]                  // 00000000547C: D3B1404E 18029D16
	v_pk_mul_f32 v[80:81], v[22:23], v[80:81]                  // 000000005484: D3B14050 1802A116
	v_pk_mul_f32 v[82:83], v[22:23], v[82:83]                  // 00000000548C: D3B14052 1802A516
	v_pk_mul_f32 v[84:85], v[22:23], v[84:85]                  // 000000005494: D3B14054 1802A916
	v_pk_mul_f32 v[86:87], v[22:23], v[86:87]                  // 00000000549C: D3B14056 1802AD16
	v_pk_mul_f32 v[88:89], v[22:23], v[88:89]                  // 0000000054A4: D3B14058 1802B116
	v_pk_mul_f32 v[90:91], v[22:23], v[90:91]                  // 0000000054AC: D3B1405A 1802B516
	v_pk_mul_f32 v[92:93], v[22:23], v[92:93]                  // 0000000054B4: D3B1405C 1802B916
	v_pk_mul_f32 v[94:95], v[22:23], v[94:95]                  // 0000000054BC: D3B1405E 1802BD16
	v_pk_mul_f32 v[96:97], v[22:23], v[96:97]                  // 0000000054C4: D3B14060 1802C116
	v_pk_mul_f32 v[98:99], v[22:23], v[98:99]                  // 0000000054CC: D3B14062 1802C516
	v_pk_mul_f32 v[100:101], v[22:23], v[100:101]              // 0000000054D4: D3B14064 1802C916
	v_pk_mul_f32 v[102:103], v[22:23], v[102:103]              // 0000000054DC: D3B14066 1802CD16
	v_pk_mul_f32 v[104:105], v[22:23], v[104:105]              // 0000000054E4: D3B14068 1802D116
	v_pk_mul_f32 v[106:107], v[22:23], v[106:107]              // 0000000054EC: D3B1406A 1802D516
	v_pk_mul_f32 v[108:109], v[22:23], v[108:109]              // 0000000054F4: D3B1406C 1802D916
	v_pk_mul_f32 v[110:111], v[22:23], v[110:111]              // 0000000054FC: D3B1406E 1802DD16
	v_pk_mul_f32 v[112:113], v[22:23], v[112:113]              // 000000005504: D3B14070 1802E116
	v_pk_mul_f32 v[114:115], v[22:23], v[114:115]              // 00000000550C: D3B14072 1802E516
	v_pk_mul_f32 v[116:117], v[22:23], v[116:117]              // 000000005514: D3B14074 1802E916
	v_pk_mul_f32 v[118:119], v[22:23], v[118:119]              // 00000000551C: D3B14076 1802ED16
	v_pk_mul_f32 v[120:121], v[22:23], v[120:121]              // 000000005524: D3B14078 1802F116
	v_pk_mul_f32 v[122:123], v[22:23], v[122:123]              // 00000000552C: D3B1407A 1802F516
	v_pk_mul_f32 v[124:125], v[22:23], v[124:125]              // 000000005534: D3B1407C 1802F916
	v_pk_mul_f32 v[126:127], v[22:23], v[126:127]              // 00000000553C: D3B1407E 1802FD16
	v_pk_mul_f32 v[128:129], v[22:23], v[128:129]              // 000000005544: D3B14080 18030116
	v_pk_mul_f32 v[130:131], v[22:23], v[130:131]              // 00000000554C: D3B14082 18030516
	v_pk_mul_f32 v[132:133], v[22:23], v[132:133]              // 000000005554: D3B14084 18030916
	v_pk_mul_f32 v[134:135], v[22:23], v[134:135]              // 00000000555C: D3B14086 18030D16
	v_pk_mul_f32 v[136:137], v[22:23], v[136:137]              // 000000005564: D3B14088 18031116
	v_pk_mul_f32 v[138:139], v[22:23], v[138:139]              // 00000000556C: D3B1408A 18031516
	v_pk_mul_f32 v[140:141], v[22:23], v[140:141]              // 000000005574: D3B1408C 18031916
	v_pk_mul_f32 v[142:143], v[22:23], v[142:143]              // 00000000557C: D3B1408E 18031D16
	v_pk_mul_f32 v[144:145], v[22:23], v[144:145]              // 000000005584: D3B14090 18032116
	v_pk_mul_f32 v[146:147], v[22:23], v[146:147]              // 00000000558C: D3B14092 18032516
	v_pk_mul_f32 v[148:149], v[22:23], v[148:149]              // 000000005594: D3B14094 18032916
	v_pk_mul_f32 v[150:151], v[22:23], v[150:151]              // 00000000559C: D3B14096 18032D16
	v_pk_mul_f32 v[152:153], v[22:23], v[152:153]              // 0000000055A4: D3B14098 18033116
	v_pk_mul_f32 v[154:155], v[22:23], v[154:155]              // 0000000055AC: D3B1409A 18033516
	v_pk_mul_f32 v[156:157], v[22:23], v[156:157]              // 0000000055B4: D3B1409C 18033916
	v_pk_mul_f32 v[158:159], v[22:23], v[158:159]              // 0000000055BC: D3B1409E 18033D16
	v_pk_mul_f32 v[160:161], v[22:23], v[160:161]              // 0000000055C4: D3B140A0 18034116
	v_pk_mul_f32 v[162:163], v[22:23], v[162:163]              // 0000000055CC: D3B140A2 18034516
	v_pk_mul_f32 v[164:165], v[22:23], v[164:165]              // 0000000055D4: D3B140A4 18034916
	v_pk_mul_f32 v[166:167], v[22:23], v[166:167]              // 0000000055DC: D3B140A6 18034D16
	s_waitcnt lgkmcnt(0)                                       // 0000000055E4: BF8CC07F
	v_mfma_f32_16x16x16_bf16 v[40:43], a[144:145], v[32:33], v[40:43]// 0000000055E8: D3E10028 0CA24190
	v_mfma_f32_16x16x16_bf16 v[44:47], a[146:147], v[32:33], v[44:47]// 0000000055F0: D3E1002C 0CB24192
	ds_read_b128 a[176:179], v7 offset:45312                   // 0000000055F8: DBFEB100 B0000007
	ds_read_b128 a[180:183], v7 offset:46336                   // 000000005600: DBFEB500 B4000007
	v_mfma_f32_16x16x16_bf16 v[48:51], a[148:149], v[32:33], v[48:51]// 000000005608: D3E10030 0CC24194
	v_mfma_f32_16x16x16_bf16 v[52:55], a[150:151], v[32:33], v[52:55]// 000000005610: D3E10034 0CD24196
	v_mfma_f32_16x16x16_bf16 v[56:59], a[152:153], v[32:33], v[56:59]// 000000005618: D3E10038 0CE24198
	v_mfma_f32_16x16x16_bf16 v[60:63], a[154:155], v[32:33], v[60:63]// 000000005620: D3E1003C 0CF2419A
	ds_read_b128 a[184:187], v7 offset:47360                   // 000000005628: DBFEB900 B8000007
	ds_read_b128 a[188:191], v7 offset:48384                   // 000000005630: DBFEBD00 BC000007
	v_mfma_f32_16x16x16_bf16 v[64:67], a[156:157], v[32:33], v[64:67]// 000000005638: D3E10040 0D02419C
	v_mfma_f32_16x16x16_bf16 v[68:71], a[158:159], v[32:33], v[68:71]// 000000005640: D3E10044 0D12419E
	v_mfma_f32_16x16x16_bf16 v[72:75], a[160:161], v[32:33], v[72:75]// 000000005648: D3E10048 0D2241A0
	v_mfma_f32_16x16x16_bf16 v[76:79], a[162:163], v[32:33], v[76:79]// 000000005650: D3E1004C 0D3241A2
	ds_read_b128 a[192:195], v7 offset:49408                   // 000000005658: DBFEC100 C0000007
	ds_read_b128 a[196:199], v7 offset:50432                   // 000000005660: DBFEC500 C4000007
	v_mfma_f32_16x16x16_bf16 v[80:83], a[164:165], v[32:33], v[80:83]// 000000005668: D3E10050 0D4241A4
	v_mfma_f32_16x16x16_bf16 v[84:87], a[166:167], v[32:33], v[84:87]// 000000005670: D3E10054 0D5241A6
	v_mfma_f32_16x16x16_bf16 v[88:91], a[168:169], v[32:33], v[88:91]// 000000005678: D3E10058 0D6241A8
	v_mfma_f32_16x16x16_bf16 v[92:95], a[170:171], v[32:33], v[92:95]// 000000005680: D3E1005C 0D7241AA
	ds_read_b128 a[200:203], v7 offset:51456                   // 000000005688: DBFEC900 C8000007
	ds_read_b128 a[204:207], v7 offset:52480                   // 000000005690: DBFECD00 CC000007
	v_mfma_f32_16x16x16_bf16 v[96:99], a[172:173], v[32:33], v[96:99]// 000000005698: D3E10060 0D8241AC
	v_mfma_f32_16x16x16_bf16 v[100:103], a[174:175], v[32:33], v[100:103]// 0000000056A0: D3E10064 0D9241AE
	s_waitcnt lgkmcnt(4)                                       // 0000000056A8: BF8CC47F
	v_mfma_f32_16x16x16_bf16 v[104:107], a[176:177], v[32:33], v[104:107]// 0000000056AC: D3E10068 0DA241B0
	v_mfma_f32_16x16x16_bf16 v[108:111], a[178:179], v[32:33], v[108:111]// 0000000056B4: D3E1006C 0DB241B2
	v_mfma_f32_16x16x16_bf16 v[112:115], a[180:181], v[32:33], v[112:115]// 0000000056BC: D3E10070 0DC241B4
	s_waitcnt vmcnt(18) lgkmcnt(0)                             // 0000000056C4: BF8C4072
	s_barrier                                                  // 0000000056C8: BF8A0000
	v_mfma_f32_16x16x16_bf16 v[116:119], a[182:183], v[32:33], v[116:119]// 0000000056CC: D3E10074 0DD241B6
	ds_read_b64 v[20:21], v5                                   // 0000000056D4: D8EC0000 14000005
	ds_read_b64 v[22:23], v5 offset:4640                       // 0000000056DC: D8EC1220 16000005
	v_mfma_f32_16x16x16_bf16 v[120:123], a[184:185], v[32:33], v[120:123]// 0000000056E4: D3E10078 0DE241B8
	ds_read_b64 v[24:25], v5 offset:9280                       // 0000000056EC: D8EC2440 18000005
	ds_read_b64 v[26:27], v5 offset:13920                      // 0000000056F4: D8EC3660 1A000005
	v_mfma_f32_16x16x16_bf16 v[124:127], a[186:187], v[32:33], v[124:127]// 0000000056FC: D3E1007C 0DF241BA
	ds_read_b128 a[144:147], v4                                // 000000005704: DBFE0000 90000004
	v_mfma_f32_16x16x16_bf16 v[128:131], a[188:189], v[32:33], v[128:131]// 00000000570C: D3E10080 0E0241BC
	ds_read_b128 a[148:151], v4 offset:64                      // 000000005714: DBFE0040 94000004
	v_mfma_f32_16x16x16_bf16 v[132:135], a[190:191], v[32:33], v[132:135]// 00000000571C: D3E10084 0E1241BE
	ds_read_b128 a[152:155], v4 offset:256                     // 000000005724: DBFE0100 98000004
	v_mfma_f32_16x16x16_bf16 v[136:139], a[192:193], v[32:33], v[136:139]// 00000000572C: D3E10088 0E2241C0
	ds_read_b128 a[156:159], v4 offset:320                     // 000000005734: DBFE0140 9C000004
	v_mfma_f32_16x16x16_bf16 v[140:143], a[194:195], v[32:33], v[140:143]// 00000000573C: D3E1008C 0E3241C2
	ds_read_b128 a[160:163], v4 offset:512                     // 000000005744: DBFE0200 A0000004
	v_mfma_f32_16x16x16_bf16 v[144:147], a[196:197], v[32:33], v[144:147]// 00000000574C: D3E10090 0E4241C4
	ds_read_b128 a[164:167], v4 offset:576                     // 000000005754: DBFE0240 A4000004
	v_mfma_f32_16x16x16_bf16 v[148:151], a[198:199], v[32:33], v[148:151]// 00000000575C: D3E10094 0E5241C6
	ds_read_b128 a[168:171], v4 offset:768                     // 000000005764: DBFE0300 A8000004
	v_mfma_f32_16x16x16_bf16 v[152:155], a[200:201], v[32:33], v[152:155]// 00000000576C: D3E10098 0E6241C8
	ds_read_b128 a[172:175], v4 offset:832                     // 000000005774: DBFE0340 AC000004
	v_mfma_f32_16x16x16_bf16 v[156:159], a[202:203], v[32:33], v[156:159]// 00000000577C: D3E1009C 0E7241CA
	s_waitcnt lgkmcnt(8)                                       // 000000005784: BF8CC87F
	v_perm_b32 v168, v22, v20, s53                             // 000000005788: D1ED00A8 00D62916
	v_perm_b32 v170, v22, v20, s52                             // 000000005790: D1ED00AA 00D22916
	v_perm_b32 v169, v26, v24, s53                             // 000000005798: D1ED00A9 00D6311A
	v_perm_b32 v171, v26, v24, s52                             // 0000000057A0: D1ED00AB 00D2311A
	v_mfma_f32_16x16x16_bf16 v[160:163], a[204:205], v[32:33], v[160:163]// 0000000057A8: D3E100A0 0E8241CC
	ds_write_b128 v6, v[168:171] offset:37120                  // 0000000057B0: D9BE9100 0000A806
	v_perm_b32 v168, v23, v21, s53                             // 0000000057B8: D1ED00A8 00D62B17
	v_perm_b32 v170, v23, v21, s52                             // 0000000057C0: D1ED00AA 00D22B17
	v_perm_b32 v169, v27, v25, s53                             // 0000000057C8: D1ED00A9 00D6331B
	v_perm_b32 v171, v27, v25, s52                             // 0000000057D0: D1ED00AB 00D2331B
	v_mfma_f32_16x16x16_bf16 v[164:167], a[206:207], v[32:33], v[164:167]// 0000000057D8: D3E100A4 0E9241CE
	ds_write_b128 v6, v[168:171] offset:38144                  // 0000000057E0: D9BE9500 0000A806
	ds_read_b64 v[20:21], v5 offset:1024                       // 0000000057E8: D8EC0400 14000005
	ds_read_b64 v[22:23], v5 offset:5664                       // 0000000057F0: D8EC1620 16000005
	ds_read_b64 v[24:25], v5 offset:10304                      // 0000000057F8: D8EC2840 18000005
	ds_read_b64 v[26:27], v5 offset:14944                      // 000000005800: D8EC3A60 1A000005
	s_nop 0                                                    // 000000005808: BF800000
	s_addk_i32 s70, 0x1                                        // 00000000580C: B7460001
	s_cmp_lt_i32 s70, s71                                      // 000000005810: BF044746
	s_cbranch_scc0 label_08CB                                  // 000000005814: BF84FB85
	s_branch label_08CE                                        // 000000005818: BF82FB87

000000000000581c <label_0D47>:
	s_cmp_eq_i32 s48, 0                                        // 00000000581C: BF008030
	s_cbranch_scc1 label_10F8                                  // 000000005820: BF8503AF

0000000000005824 <label_0D49>:
	s_and_b32 s56, s71, 1                                      // 000000005824: 86388147
	s_cmp_eq_i32 s56, 1                                        // 000000005828: BF008138
	s_cbranch_scc1 label_0F22                                  // 00000000582C: BF8501D6
	s_waitcnt lgkmcnt(4)                                       // 000000005830: BF8CC47F
	v_mfma_f32_16x16x16_bf16 v[32:35], a[144:145], a[0:1], 0   // 000000005834: D3E10020 1A020190
	ds_read_b128 a[176:179], v4 offset:1024                    // 00000000583C: DBFE0400 B0000004
	ds_read_b128 a[180:183], v4 offset:1088                    // 000000005844: DBFE0440 B4000004
	v_mfma_f32_16x16x16_bf16 v[32:35], a[146:147], a[2:3], v[32:35]// 00000000584C: D3E10020 1C820592
	v_mfma_f32_16x16x16_bf16 v[32:35], a[148:149], a[4:5], v[32:35]// 000000005854: D3E10020 1C820994
	v_mfma_f32_16x16x16_bf16 v[32:35], a[150:151], a[6:7], v[32:35]// 00000000585C: D3E10020 1C820D96
	v_mfma_f32_16x16x16_bf16 v[32:35], a[152:153], a[8:9], v[32:35]// 000000005864: D3E10020 1C821198
	ds_read_b128 a[184:187], v4 offset:1280                    // 00000000586C: DBFE0500 B8000004
	ds_read_b128 a[188:191], v4 offset:1344                    // 000000005874: DBFE0540 BC000004
	v_mfma_f32_16x16x16_bf16 v[32:35], a[154:155], a[10:11], v[32:35]// 00000000587C: D3E10020 1C82159A
	v_mfma_f32_16x16x16_bf16 v[32:35], a[156:157], a[12:13], v[32:35]// 000000005884: D3E10020 1C82199C
	v_mfma_f32_16x16x16_bf16 v[32:35], a[158:159], a[14:15], v[32:35]// 00000000588C: D3E10020 1C821D9E
	s_waitcnt lgkmcnt(4)                                       // 000000005894: BF8CC47F
	v_mfma_f32_16x16x16_bf16 v[32:35], a[160:161], a[16:17], v[32:35]// 000000005898: D3E10020 1C8221A0
	ds_read_b128 a[192:195], v4 offset:1536                    // 0000000058A0: DBFE0600 C0000004
	ds_read_b128 a[196:199], v4 offset:1600                    // 0000000058A8: DBFE0640 C4000004
	v_mfma_f32_16x16x16_bf16 v[32:35], a[162:163], a[18:19], v[32:35]// 0000000058B0: D3E10020 1C8225A2
	v_mfma_f32_16x16x16_bf16 v[32:35], a[164:165], a[20:21], v[32:35]// 0000000058B8: D3E10020 1C8229A4
	v_mfma_f32_16x16x16_bf16 v[32:35], a[166:167], a[22:23], v[32:35]// 0000000058C0: D3E10020 1C822DA6
	v_mfma_f32_16x16x16_bf16 v[32:35], a[168:169], a[24:25], v[32:35]// 0000000058C8: D3E10020 1C8231A8
	ds_read_b128 a[200:203], v4 offset:1792                    // 0000000058D0: DBFE0700 C8000004
	ds_read_b128 a[204:207], v4 offset:1856                    // 0000000058D8: DBFE0740 CC000004
	v_mfma_f32_16x16x16_bf16 v[32:35], a[170:171], a[26:27], v[32:35]// 0000000058E0: D3E10020 1C8235AA
	v_mfma_f32_16x16x16_bf16 v[32:35], a[172:173], a[28:29], v[32:35]// 0000000058E8: D3E10020 1C8239AC
	v_mfma_f32_16x16x16_bf16 v[32:35], a[174:175], a[30:31], v[32:35]// 0000000058F0: D3E10020 1C823DAE
	s_waitcnt lgkmcnt(4)                                       // 0000000058F8: BF8CC47F
	s_barrier                                                  // 0000000058FC: BF8A0000
	v_mfma_f32_16x16x16_bf16 v[32:35], a[176:177], a[32:33], v[32:35]// 000000005900: D3E10020 1C8241B0
	ds_read_b128 a[208:211], v4 offset:2048                    // 000000005908: DBFE0800 D0000004
	ds_read_b128 a[212:215], v4 offset:2112                    // 000000005910: DBFE0840 D4000004
	v_mfma_f32_16x16x16_bf16 v[32:35], a[178:179], a[34:35], v[32:35]// 000000005918: D3E10020 1C8245B2
	v_mfma_f32_16x16x16_bf16 v[32:35], a[180:181], a[36:37], v[32:35]// 000000005920: D3E10020 1C8249B4
	v_perm_b32 v168, v22, v20, s53                             // 000000005928: D1ED00A8 00D62916
	v_perm_b32 v170, v22, v20, s52                             // 000000005930: D1ED00AA 00D22916
	v_perm_b32 v169, v26, v24, s53                             // 000000005938: D1ED00A9 00D6311A
	v_perm_b32 v171, v26, v24, s52                             // 000000005940: D1ED00AB 00D2311A
	v_mfma_f32_16x16x16_bf16 v[32:35], a[182:183], a[38:39], v[32:35]// 000000005948: D3E10020 1C824DB6
	v_mfma_f32_16x16x16_bf16 v[32:35], a[184:185], a[40:41], v[32:35]// 000000005950: D3E10020 1C8251B8
	ds_write_b128 v6, v[168:171] offset:45312                  // 000000005958: D9BEB100 0000A806
	v_mfma_f32_16x16x16_bf16 v[32:35], a[186:187], a[42:43], v[32:35]// 000000005960: D3E10020 1C8255BA
	v_mfma_f32_16x16x16_bf16 v[32:35], a[188:189], a[44:45], v[32:35]// 000000005968: D3E10020 1C8259BC
	v_perm_b32 v168, v23, v21, s53                             // 000000005970: D1ED00A8 00D62B17
	v_perm_b32 v170, v23, v21, s52                             // 000000005978: D1ED00AA 00D22B17
	v_perm_b32 v169, v27, v25, s53                             // 000000005980: D1ED00A9 00D6331B
	v_perm_b32 v171, v27, v25, s52                             // 000000005988: D1ED00AB 00D2331B
	v_mfma_f32_16x16x16_bf16 v[32:35], a[190:191], a[46:47], v[32:35]// 000000005990: D3E10020 1C825DBE
	s_waitcnt lgkmcnt(1)                                       // 000000005998: BF8CC17F
	v_mfma_f32_16x16x16_bf16 v[32:35], a[192:193], a[48:49], v[32:35]// 00000000599C: D3E10020 1C8261C0
	ds_write_b128 v6, v[168:171] offset:46336                  // 0000000059A4: D9BEB500 0000A806
	v_mfma_f32_16x16x16_bf16 v[32:35], a[194:195], a[50:51], v[32:35]// 0000000059AC: D3E10020 1C8265C2
	v_mfma_f32_16x16x16_bf16 v[32:35], a[196:197], a[52:53], v[32:35]// 0000000059B4: D3E10020 1C8269C4
	v_mfma_f32_16x16x16_bf16 v[32:35], a[198:199], a[54:55], v[32:35]// 0000000059BC: D3E10020 1C826DC6
	v_mfma_f32_16x16x16_bf16 v[32:35], a[200:201], a[56:57], v[32:35]// 0000000059C4: D3E10020 1C8271C8
	v_mfma_f32_16x16x16_bf16 v[32:35], a[202:203], a[58:59], v[32:35]// 0000000059CC: D3E10020 1C8275CA
	v_mfma_f32_16x16x16_bf16 v[32:35], a[204:205], a[60:61], v[32:35]// 0000000059D4: D3E10020 1C8279CC
	v_mfma_f32_16x16x16_bf16 v[32:35], a[206:207], a[62:63], v[32:35]// 0000000059DC: D3E10020 1C827DCE
	v_mfma_f32_16x16x16_bf16 v[32:35], a[208:209], a[64:65], v[32:35]// 0000000059E4: D3E10020 1C8281D0
	v_mfma_f32_16x16x16_bf16 v[32:35], a[210:211], a[66:67], v[32:35]// 0000000059EC: D3E10020 1C8285D2
	v_mfma_f32_16x16x16_bf16 v[32:35], a[212:213], a[68:69], v[32:35]// 0000000059F4: D3E10020 1C8289D4
	v_mfma_f32_16x16x16_bf16 v[32:35], a[214:215], a[70:71], v[32:35]// 0000000059FC: D3E10020 1C828DD6
	s_waitcnt lgkmcnt(0)                                       // 000000005A04: BF8CC07F
	s_barrier                                                  // 000000005A08: BF8A0000
	v_mov_b32_e32 v25, 0xff800000                              // 000000005A0C: 7E3202FF FF800000
	s_and_b32 s56, s48, 0xff                                   // 000000005A14: 8638FF30 000000FF
	v_mov_b32_e32 v24, s56                                     // 000000005A1C: 7E300238
	v_lshrrev_b32_e32 v20, 4, v0                               // 000000005A20: 20280084
	v_mul_i32_i24_e32 v20, 4, v20                              // 000000005A24: 0C282884
	v_add_u32_e32 v21, 1, v20                                  // 000000005A28: 682A2881
	v_add_u32_e32 v22, 2, v20                                  // 000000005A2C: 682C2882
	v_add_u32_e32 v23, 3, v20                                  // 000000005A30: 682E2883
	v_cmp_lt_u32_e64 s[38:39], v20, v24                        // 000000005A34: D0C90026 00023114
	v_add_u32_e32 v20, 64, v20                                 // 000000005A3C: 682828C0
	s_nop 0                                                    // 000000005A40: BF800000
	v_cndmask_b32_e64 v32, v25, v32, s[38:39]                  // 000000005A44: D1000020 009A4119
	v_cmp_lt_u32_e64 s[38:39], v21, v24                        // 000000005A4C: D0C90026 00023115
	v_add_u32_e32 v21, 64, v21                                 // 000000005A54: 682A2AC0
	s_nop 0                                                    // 000000005A58: BF800000
	v_cndmask_b32_e64 v33, v25, v33, s[38:39]                  // 000000005A5C: D1000021 009A4319
	v_cmp_lt_u32_e64 s[38:39], v22, v24                        // 000000005A64: D0C90026 00023116
	v_add_u32_e32 v22, 64, v22                                 // 000000005A6C: 682C2CC0
	s_nop 0                                                    // 000000005A70: BF800000
	v_cndmask_b32_e64 v34, v25, v34, s[38:39]                  // 000000005A74: D1000022 009A4519
	v_cmp_lt_u32_e64 s[38:39], v23, v24                        // 000000005A7C: D0C90026 00023117
	v_add_u32_e32 v23, 64, v23                                 // 000000005A84: 682E2EC0
	s_nop 0                                                    // 000000005A88: BF800000
	v_cndmask_b32_e64 v35, v25, v35, s[38:39]                  // 000000005A8C: D1000023 009A4719
	v_max3_f32 v24, v32, v33, v32                              // 000000005A94: D1D30018 04824320
	v_max3_f32 v24, v34, v35, v24                              // 000000005A9C: D1D30018 04624722
	ds_write_b32 v3, v24 offset:53504                          // 000000005AA4: D81AD100 00001803
	s_waitcnt lgkmcnt(0)                                       // 000000005AAC: BF8CC07F
	ds_read_b32 v20, v2 offset:53504                           // 000000005AB0: D86CD100 14000002
	ds_read_b32 v21, v2 offset:53568                           // 000000005AB8: D86CD140 15000002
	ds_read_b32 v22, v2 offset:53632                           // 000000005AC0: D86CD180 16000002
	ds_read_b32 v23, v2 offset:53696                           // 000000005AC8: D86CD1C0 17000002
	s_waitcnt lgkmcnt(0)                                       // 000000005AD0: BF8CC07F
	v_max3_f32 v24, v20, v21, v24                              // 000000005AD4: D1D30018 04622B14
	v_max3_f32 v24, v22, v23, v24                              // 000000005ADC: D1D30018 04622F16
	ds_read_b128 a[144:147], v7 offset:37120                   // 000000005AE4: DBFE9100 90000007
	ds_read_b128 a[148:151], v7 offset:38144                   // 000000005AEC: DBFE9500 94000007
	ds_read_b128 a[152:155], v7 offset:39168                   // 000000005AF4: DBFE9900 98000007
	ds_read_b128 a[156:159], v7 offset:40192                   // 000000005AFC: DBFE9D00 9C000007
	ds_read_b128 a[160:163], v7 offset:41216                   // 000000005B04: DBFEA100 A0000007
	ds_read_b128 a[164:167], v7 offset:42240                   // 000000005B0C: DBFEA500 A4000007
	ds_read_b128 a[168:171], v7 offset:43264                   // 000000005B14: DBFEA900 A8000007
	ds_read_b128 a[172:175], v7 offset:44288                   // 000000005B1C: DBFEAD00 AC000007
	v_mov_b32_e32 v25, 0xff7fffff                              // 000000005B24: 7E3202FF FF7FFFFF
	v_cmp_eq_u32_e64 s[38:39], v25, v12                        // 000000005B2C: D0CA0026 00021919
	v_max_f32_e32 v20, v24, v12                                // 000000005B34: 16281918
	v_sub_f32_e32 v16, v12, v20                                // 000000005B38: 0420290C
	v_cndmask_b32_e64 v16, v16, 0, s[38:39]                    // 000000005B3C: D1000010 00990110
	v_mov_b32_e32 v12, v20                                     // 000000005B44: 7E180314
	v_mul_f32_e32 v21, s5, v20                                 // 000000005B48: 0A2A2805
	v_mul_f32_e32 v16, s5, v16                                 // 000000005B4C: 0A202005
	v_exp_f32_e32 v16, v16                                     // 000000005B50: 7E204110
	v_fma_f32 v32, v32, s5, -v21                               // 000000005B54: D1CB0020 84540B20
	v_fma_f32 v33, v33, s5, -v21                               // 000000005B5C: D1CB0021 84540B21
	v_fma_f32 v34, v34, s5, -v21                               // 000000005B64: D1CB0022 84540B22
	v_fma_f32 v35, v35, s5, -v21                               // 000000005B6C: D1CB0023 84540B23
	v_exp_f32_e32 v32, v32                                     // 000000005B74: 7E404120
	v_exp_f32_e32 v33, v33                                     // 000000005B78: 7E424121
	v_exp_f32_e32 v34, v34                                     // 000000005B7C: 7E444122
	v_exp_f32_e32 v35, v35                                     // 000000005B80: 7E464123
	v_mul_f32_e32 v14, v16, v14                                // 000000005B84: 0A1C1D10
	v_mov_b32_e32 v22, v32                                     // 000000005B88: 7E2C0320
	v_add_f32_e32 v22, v33, v22                                // 000000005B8C: 022C2D21
	v_add_f32_e32 v22, v34, v22                                // 000000005B90: 022C2D22
	v_add_f32_e32 v22, v35, v22                                // 000000005B94: 022C2D23
	v_add_f32_e32 v14, v22, v14                                // 000000005B98: 021C1D16
	v_mov_b32_e32 v29, 0xffff0000                              // 000000005B9C: 7E3A02FF FFFF0000
	v_mov_b32_e32 v30, 0x7fff0000                              // 000000005BA4: 7E3C02FF 7FFF0000
	v_mov_b32_e32 v31, 0x7fff                                  // 000000005BAC: 7E3E02FF 00007FFF
	v_cmp_u_f32_e64 s[38:39], v32, v32                         // 000000005BB4: D0480026 00024120
	v_add3_u32 v28, v32, v31, 1                                // 000000005BBC: D1FF001C 02063F20
	v_cndmask_b32_e64 v20, v28, v30, s[38:39]                  // 000000005BC4: D1000014 009A3D1C
	v_cmp_u_f32_e64 s[38:39], v33, v33                         // 000000005BCC: D0480026 00024321
	v_add3_u32 v28, v33, v31, 1                                // 000000005BD4: D1FF001C 02063F21
	v_cndmask_b32_e64 v21, v28, v30, s[38:39]                  // 000000005BDC: D1000015 009A3D1C
	v_perm_b32 v32, v21, v20, s52                              // 000000005BE4: D1ED0020 00D22915
	v_cmp_u_f32_e64 s[38:39], v34, v34                         // 000000005BEC: D0480026 00024522
	v_add3_u32 v28, v34, v31, 1                                // 000000005BF4: D1FF001C 02063F22
	v_cndmask_b32_e64 v20, v28, v30, s[38:39]                  // 000000005BFC: D1000014 009A3D1C
	v_cmp_u_f32_e64 s[38:39], v35, v35                         // 000000005C04: D0480026 00024723
	v_add3_u32 v28, v35, v31, 1                                // 000000005C0C: D1FF001C 02063F23
	v_cndmask_b32_e64 v21, v28, v30, s[38:39]                  // 000000005C14: D1000015 009A3D1C
	v_perm_b32 v33, v21, v20, s52                              // 000000005C1C: D1ED0021 00D22915
	s_nop 2                                                    // 000000005C24: BF800002
	v_mov_b32_e32 v22, v16                                     // 000000005C28: 7E2C0310
	v_mov_b32_e32 v23, v16                                     // 000000005C2C: 7E2E0310
	v_pk_mul_f32 v[40:41], v[22:23], v[40:41]                  // 000000005C30: D3B14028 18025116
	v_pk_mul_f32 v[42:43], v[22:23], v[42:43]                  // 000000005C38: D3B1402A 18025516
	v_pk_mul_f32 v[44:45], v[22:23], v[44:45]                  // 000000005C40: D3B1402C 18025916
	v_pk_mul_f32 v[46:47], v[22:23], v[46:47]                  // 000000005C48: D3B1402E 18025D16
	v_pk_mul_f32 v[48:49], v[22:23], v[48:49]                  // 000000005C50: D3B14030 18026116
	v_pk_mul_f32 v[50:51], v[22:23], v[50:51]                  // 000000005C58: D3B14032 18026516
	v_pk_mul_f32 v[52:53], v[22:23], v[52:53]                  // 000000005C60: D3B14034 18026916
	v_pk_mul_f32 v[54:55], v[22:23], v[54:55]                  // 000000005C68: D3B14036 18026D16
	v_pk_mul_f32 v[56:57], v[22:23], v[56:57]                  // 000000005C70: D3B14038 18027116
	v_pk_mul_f32 v[58:59], v[22:23], v[58:59]                  // 000000005C78: D3B1403A 18027516
	v_pk_mul_f32 v[60:61], v[22:23], v[60:61]                  // 000000005C80: D3B1403C 18027916
	v_pk_mul_f32 v[62:63], v[22:23], v[62:63]                  // 000000005C88: D3B1403E 18027D16
	v_pk_mul_f32 v[64:65], v[22:23], v[64:65]                  // 000000005C90: D3B14040 18028116
	v_pk_mul_f32 v[66:67], v[22:23], v[66:67]                  // 000000005C98: D3B14042 18028516
	v_pk_mul_f32 v[68:69], v[22:23], v[68:69]                  // 000000005CA0: D3B14044 18028916
	v_pk_mul_f32 v[70:71], v[22:23], v[70:71]                  // 000000005CA8: D3B14046 18028D16
	v_pk_mul_f32 v[72:73], v[22:23], v[72:73]                  // 000000005CB0: D3B14048 18029116
	v_pk_mul_f32 v[74:75], v[22:23], v[74:75]                  // 000000005CB8: D3B1404A 18029516
	v_pk_mul_f32 v[76:77], v[22:23], v[76:77]                  // 000000005CC0: D3B1404C 18029916
	v_pk_mul_f32 v[78:79], v[22:23], v[78:79]                  // 000000005CC8: D3B1404E 18029D16
	v_pk_mul_f32 v[80:81], v[22:23], v[80:81]                  // 000000005CD0: D3B14050 1802A116
	v_pk_mul_f32 v[82:83], v[22:23], v[82:83]                  // 000000005CD8: D3B14052 1802A516
	v_pk_mul_f32 v[84:85], v[22:23], v[84:85]                  // 000000005CE0: D3B14054 1802A916
	v_pk_mul_f32 v[86:87], v[22:23], v[86:87]                  // 000000005CE8: D3B14056 1802AD16
	v_pk_mul_f32 v[88:89], v[22:23], v[88:89]                  // 000000005CF0: D3B14058 1802B116
	v_pk_mul_f32 v[90:91], v[22:23], v[90:91]                  // 000000005CF8: D3B1405A 1802B516
	v_pk_mul_f32 v[92:93], v[22:23], v[92:93]                  // 000000005D00: D3B1405C 1802B916
	v_pk_mul_f32 v[94:95], v[22:23], v[94:95]                  // 000000005D08: D3B1405E 1802BD16
	v_pk_mul_f32 v[96:97], v[22:23], v[96:97]                  // 000000005D10: D3B14060 1802C116
	v_pk_mul_f32 v[98:99], v[22:23], v[98:99]                  // 000000005D18: D3B14062 1802C516
	v_pk_mul_f32 v[100:101], v[22:23], v[100:101]              // 000000005D20: D3B14064 1802C916
	v_pk_mul_f32 v[102:103], v[22:23], v[102:103]              // 000000005D28: D3B14066 1802CD16
	v_pk_mul_f32 v[104:105], v[22:23], v[104:105]              // 000000005D30: D3B14068 1802D116
	v_pk_mul_f32 v[106:107], v[22:23], v[106:107]              // 000000005D38: D3B1406A 1802D516
	v_pk_mul_f32 v[108:109], v[22:23], v[108:109]              // 000000005D40: D3B1406C 1802D916
	v_pk_mul_f32 v[110:111], v[22:23], v[110:111]              // 000000005D48: D3B1406E 1802DD16
	v_pk_mul_f32 v[112:113], v[22:23], v[112:113]              // 000000005D50: D3B14070 1802E116
	v_pk_mul_f32 v[114:115], v[22:23], v[114:115]              // 000000005D58: D3B14072 1802E516
	v_pk_mul_f32 v[116:117], v[22:23], v[116:117]              // 000000005D60: D3B14074 1802E916
	v_pk_mul_f32 v[118:119], v[22:23], v[118:119]              // 000000005D68: D3B14076 1802ED16
	v_pk_mul_f32 v[120:121], v[22:23], v[120:121]              // 000000005D70: D3B14078 1802F116
	v_pk_mul_f32 v[122:123], v[22:23], v[122:123]              // 000000005D78: D3B1407A 1802F516
	v_pk_mul_f32 v[124:125], v[22:23], v[124:125]              // 000000005D80: D3B1407C 1802F916
	v_pk_mul_f32 v[126:127], v[22:23], v[126:127]              // 000000005D88: D3B1407E 1802FD16
	v_pk_mul_f32 v[128:129], v[22:23], v[128:129]              // 000000005D90: D3B14080 18030116
	v_pk_mul_f32 v[130:131], v[22:23], v[130:131]              // 000000005D98: D3B14082 18030516
	v_pk_mul_f32 v[132:133], v[22:23], v[132:133]              // 000000005DA0: D3B14084 18030916
	v_pk_mul_f32 v[134:135], v[22:23], v[134:135]              // 000000005DA8: D3B14086 18030D16
	v_pk_mul_f32 v[136:137], v[22:23], v[136:137]              // 000000005DB0: D3B14088 18031116
	v_pk_mul_f32 v[138:139], v[22:23], v[138:139]              // 000000005DB8: D3B1408A 18031516
	v_pk_mul_f32 v[140:141], v[22:23], v[140:141]              // 000000005DC0: D3B1408C 18031916
	v_pk_mul_f32 v[142:143], v[22:23], v[142:143]              // 000000005DC8: D3B1408E 18031D16
	v_pk_mul_f32 v[144:145], v[22:23], v[144:145]              // 000000005DD0: D3B14090 18032116
	v_pk_mul_f32 v[146:147], v[22:23], v[146:147]              // 000000005DD8: D3B14092 18032516
	v_pk_mul_f32 v[148:149], v[22:23], v[148:149]              // 000000005DE0: D3B14094 18032916
	v_pk_mul_f32 v[150:151], v[22:23], v[150:151]              // 000000005DE8: D3B14096 18032D16
	v_pk_mul_f32 v[152:153], v[22:23], v[152:153]              // 000000005DF0: D3B14098 18033116
	v_pk_mul_f32 v[154:155], v[22:23], v[154:155]              // 000000005DF8: D3B1409A 18033516
	v_pk_mul_f32 v[156:157], v[22:23], v[156:157]              // 000000005E00: D3B1409C 18033916
	v_pk_mul_f32 v[158:159], v[22:23], v[158:159]              // 000000005E08: D3B1409E 18033D16
	v_pk_mul_f32 v[160:161], v[22:23], v[160:161]              // 000000005E10: D3B140A0 18034116
	v_pk_mul_f32 v[162:163], v[22:23], v[162:163]              // 000000005E18: D3B140A2 18034516
	v_pk_mul_f32 v[164:165], v[22:23], v[164:165]              // 000000005E20: D3B140A4 18034916
	v_pk_mul_f32 v[166:167], v[22:23], v[166:167]              // 000000005E28: D3B140A6 18034D16
	s_waitcnt lgkmcnt(0)                                       // 000000005E30: BF8CC07F
	v_mfma_f32_16x16x16_bf16 v[40:43], a[144:145], v[32:33], v[40:43]// 000000005E34: D3E10028 0CA24190
	ds_read_b128 a[176:179], v7 offset:45312                   // 000000005E3C: DBFEB100 B0000007
	ds_read_b128 a[180:183], v7 offset:46336                   // 000000005E44: DBFEB500 B4000007
	v_mfma_f32_16x16x16_bf16 v[44:47], a[146:147], v[32:33], v[44:47]// 000000005E4C: D3E1002C 0CB24192
	v_mfma_f32_16x16x16_bf16 v[48:51], a[148:149], v[32:33], v[48:51]// 000000005E54: D3E10030 0CC24194
	v_mfma_f32_16x16x16_bf16 v[52:55], a[150:151], v[32:33], v[52:55]// 000000005E5C: D3E10034 0CD24196
	v_mfma_f32_16x16x16_bf16 v[56:59], a[152:153], v[32:33], v[56:59]// 000000005E64: D3E10038 0CE24198
	ds_read_b128 a[184:187], v7 offset:47360                   // 000000005E6C: DBFEB900 B8000007
	ds_read_b128 a[188:191], v7 offset:48384                   // 000000005E74: DBFEBD00 BC000007
	v_mfma_f32_16x16x16_bf16 v[60:63], a[154:155], v[32:33], v[60:63]// 000000005E7C: D3E1003C 0CF2419A
	v_mfma_f32_16x16x16_bf16 v[64:67], a[156:157], v[32:33], v[64:67]// 000000005E84: D3E10040 0D02419C
	v_mfma_f32_16x16x16_bf16 v[68:71], a[158:159], v[32:33], v[68:71]// 000000005E8C: D3E10044 0D12419E
	v_mfma_f32_16x16x16_bf16 v[72:75], a[160:161], v[32:33], v[72:75]// 000000005E94: D3E10048 0D2241A0
	ds_read_b128 a[192:195], v7 offset:49408                   // 000000005E9C: DBFEC100 C0000007
	ds_read_b128 a[196:199], v7 offset:50432                   // 000000005EA4: DBFEC500 C4000007
	v_mfma_f32_16x16x16_bf16 v[76:79], a[162:163], v[32:33], v[76:79]// 000000005EAC: D3E1004C 0D3241A2
	v_mfma_f32_16x16x16_bf16 v[80:83], a[164:165], v[32:33], v[80:83]// 000000005EB4: D3E10050 0D4241A4
	v_mfma_f32_16x16x16_bf16 v[84:87], a[166:167], v[32:33], v[84:87]// 000000005EBC: D3E10054 0D5241A6
	v_mfma_f32_16x16x16_bf16 v[88:91], a[168:169], v[32:33], v[88:91]// 000000005EC4: D3E10058 0D6241A8
	ds_read_b128 a[200:203], v7 offset:51456                   // 000000005ECC: DBFEC900 C8000007
	ds_read_b128 a[204:207], v7 offset:52480                   // 000000005ED4: DBFECD00 CC000007
	v_mfma_f32_16x16x16_bf16 v[92:95], a[170:171], v[32:33], v[92:95]// 000000005EDC: D3E1005C 0D7241AA
	v_mfma_f32_16x16x16_bf16 v[96:99], a[172:173], v[32:33], v[96:99]// 000000005EE4: D3E10060 0D8241AC
	v_mfma_f32_16x16x16_bf16 v[100:103], a[174:175], v[32:33], v[100:103]// 000000005EEC: D3E10064 0D9241AE
	s_waitcnt lgkmcnt(4)                                       // 000000005EF4: BF8CC47F
	v_mfma_f32_16x16x16_bf16 v[104:107], a[176:177], v[32:33], v[104:107]// 000000005EF8: D3E10068 0DA241B0
	v_mfma_f32_16x16x16_bf16 v[108:111], a[178:179], v[32:33], v[108:111]// 000000005F00: D3E1006C 0DB241B2
	v_mfma_f32_16x16x16_bf16 v[112:115], a[180:181], v[32:33], v[112:115]// 000000005F08: D3E10070 0DC241B4
	s_waitcnt vmcnt(18) lgkmcnt(0)                             // 000000005F10: BF8C4072
	s_barrier                                                  // 000000005F14: BF8A0000
	v_mfma_f32_16x16x16_bf16 v[116:119], a[182:183], v[32:33], v[116:119]// 000000005F18: D3E10074 0DD241B6
	v_mfma_f32_16x16x16_bf16 v[120:123], a[184:185], v[32:33], v[120:123]// 000000005F20: D3E10078 0DE241B8
	v_mfma_f32_16x16x16_bf16 v[124:127], a[186:187], v[32:33], v[124:127]// 000000005F28: D3E1007C 0DF241BA
	v_mfma_f32_16x16x16_bf16 v[128:131], a[188:189], v[32:33], v[128:131]// 000000005F30: D3E10080 0E0241BC
	v_mfma_f32_16x16x16_bf16 v[132:135], a[190:191], v[32:33], v[132:135]// 000000005F38: D3E10084 0E1241BE
	v_mfma_f32_16x16x16_bf16 v[136:139], a[192:193], v[32:33], v[136:139]// 000000005F40: D3E10088 0E2241C0
	v_mfma_f32_16x16x16_bf16 v[140:143], a[194:195], v[32:33], v[140:143]// 000000005F48: D3E1008C 0E3241C2
	v_mfma_f32_16x16x16_bf16 v[144:147], a[196:197], v[32:33], v[144:147]// 000000005F50: D3E10090 0E4241C4
	v_mfma_f32_16x16x16_bf16 v[148:151], a[198:199], v[32:33], v[148:151]// 000000005F58: D3E10094 0E5241C6
	v_mfma_f32_16x16x16_bf16 v[152:155], a[200:201], v[32:33], v[152:155]// 000000005F60: D3E10098 0E6241C8
	v_mfma_f32_16x16x16_bf16 v[156:159], a[202:203], v[32:33], v[156:159]// 000000005F68: D3E1009C 0E7241CA
	v_mfma_f32_16x16x16_bf16 v[160:163], a[204:205], v[32:33], v[160:163]// 000000005F70: D3E100A0 0E8241CC
	v_mfma_f32_16x16x16_bf16 v[164:167], a[206:207], v[32:33], v[164:167]// 000000005F78: D3E100A4 0E9241CE
	s_nop 8                                                    // 000000005F80: BF800008
	s_branch label_10F8                                        // 000000005F84: BF8201D6

0000000000005f88 <label_0F22>:
	s_waitcnt lgkmcnt(4)                                       // 000000005F88: BF8CC47F
	v_mfma_f32_16x16x16_bf16 v[32:35], a[144:145], a[0:1], 0   // 000000005F8C: D3E10020 1A020190
	ds_read_b128 a[176:179], v4 offset:19584                   // 000000005F94: DBFE4C80 B0000004
	ds_read_b128 a[180:183], v4 offset:19648                   // 000000005F9C: DBFE4CC0 B4000004
	v_mfma_f32_16x16x16_bf16 v[32:35], a[146:147], a[2:3], v[32:35]// 000000005FA4: D3E10020 1C820592
	v_mfma_f32_16x16x16_bf16 v[32:35], a[148:149], a[4:5], v[32:35]// 000000005FAC: D3E10020 1C820994
	v_mfma_f32_16x16x16_bf16 v[32:35], a[150:151], a[6:7], v[32:35]// 000000005FB4: D3E10020 1C820D96
	v_mfma_f32_16x16x16_bf16 v[32:35], a[152:153], a[8:9], v[32:35]// 000000005FBC: D3E10020 1C821198
	ds_read_b128 a[184:187], v4 offset:19840                   // 000000005FC4: DBFE4D80 B8000004
	ds_read_b128 a[188:191], v4 offset:19904                   // 000000005FCC: DBFE4DC0 BC000004
	v_mfma_f32_16x16x16_bf16 v[32:35], a[154:155], a[10:11], v[32:35]// 000000005FD4: D3E10020 1C82159A
	v_mfma_f32_16x16x16_bf16 v[32:35], a[156:157], a[12:13], v[32:35]// 000000005FDC: D3E10020 1C82199C
	v_mfma_f32_16x16x16_bf16 v[32:35], a[158:159], a[14:15], v[32:35]// 000000005FE4: D3E10020 1C821D9E
	s_waitcnt lgkmcnt(4)                                       // 000000005FEC: BF8CC47F
	v_mfma_f32_16x16x16_bf16 v[32:35], a[160:161], a[16:17], v[32:35]// 000000005FF0: D3E10020 1C8221A0
	ds_read_b128 a[192:195], v4 offset:20096                   // 000000005FF8: DBFE4E80 C0000004
	ds_read_b128 a[196:199], v4 offset:20160                   // 000000006000: DBFE4EC0 C4000004
	v_mfma_f32_16x16x16_bf16 v[32:35], a[162:163], a[18:19], v[32:35]// 000000006008: D3E10020 1C8225A2
	v_mfma_f32_16x16x16_bf16 v[32:35], a[164:165], a[20:21], v[32:35]// 000000006010: D3E10020 1C8229A4
	v_mfma_f32_16x16x16_bf16 v[32:35], a[166:167], a[22:23], v[32:35]// 000000006018: D3E10020 1C822DA6
	v_mfma_f32_16x16x16_bf16 v[32:35], a[168:169], a[24:25], v[32:35]// 000000006020: D3E10020 1C8231A8
	ds_read_b128 a[200:203], v4 offset:20352                   // 000000006028: DBFE4F80 C8000004
	ds_read_b128 a[204:207], v4 offset:20416                   // 000000006030: DBFE4FC0 CC000004
	v_mfma_f32_16x16x16_bf16 v[32:35], a[170:171], a[26:27], v[32:35]// 000000006038: D3E10020 1C8235AA
	v_mfma_f32_16x16x16_bf16 v[32:35], a[172:173], a[28:29], v[32:35]// 000000006040: D3E10020 1C8239AC
	v_mfma_f32_16x16x16_bf16 v[32:35], a[174:175], a[30:31], v[32:35]// 000000006048: D3E10020 1C823DAE
	s_waitcnt lgkmcnt(4)                                       // 000000006050: BF8CC47F
	s_barrier                                                  // 000000006054: BF8A0000
	v_mfma_f32_16x16x16_bf16 v[32:35], a[176:177], a[32:33], v[32:35]// 000000006058: D3E10020 1C8241B0
	ds_read_b128 a[208:211], v4 offset:20608                   // 000000006060: DBFE5080 D0000004
	ds_read_b128 a[212:215], v4 offset:20672                   // 000000006068: DBFE50C0 D4000004
	v_mfma_f32_16x16x16_bf16 v[32:35], a[178:179], a[34:35], v[32:35]// 000000006070: D3E10020 1C8245B2
	v_mfma_f32_16x16x16_bf16 v[32:35], a[180:181], a[36:37], v[32:35]// 000000006078: D3E10020 1C8249B4
	v_perm_b32 v168, v22, v20, s53                             // 000000006080: D1ED00A8 00D62916
	v_perm_b32 v170, v22, v20, s52                             // 000000006088: D1ED00AA 00D22916
	v_perm_b32 v169, v26, v24, s53                             // 000000006090: D1ED00A9 00D6311A
	v_perm_b32 v171, v26, v24, s52                             // 000000006098: D1ED00AB 00D2311A
	v_mfma_f32_16x16x16_bf16 v[32:35], a[182:183], a[38:39], v[32:35]// 0000000060A0: D3E10020 1C824DB6
	v_mfma_f32_16x16x16_bf16 v[32:35], a[184:185], a[40:41], v[32:35]// 0000000060A8: D3E10020 1C8251B8
	ds_write_b128 v6, v[168:171] offset:45312                  // 0000000060B0: D9BEB100 0000A806
	v_mfma_f32_16x16x16_bf16 v[32:35], a[186:187], a[42:43], v[32:35]// 0000000060B8: D3E10020 1C8255BA
	v_mfma_f32_16x16x16_bf16 v[32:35], a[188:189], a[44:45], v[32:35]// 0000000060C0: D3E10020 1C8259BC
	v_perm_b32 v168, v23, v21, s53                             // 0000000060C8: D1ED00A8 00D62B17
	v_perm_b32 v170, v23, v21, s52                             // 0000000060D0: D1ED00AA 00D22B17
	v_perm_b32 v169, v27, v25, s53                             // 0000000060D8: D1ED00A9 00D6331B
	v_perm_b32 v171, v27, v25, s52                             // 0000000060E0: D1ED00AB 00D2331B
	v_mfma_f32_16x16x16_bf16 v[32:35], a[190:191], a[46:47], v[32:35]// 0000000060E8: D3E10020 1C825DBE
	s_waitcnt lgkmcnt(1)                                       // 0000000060F0: BF8CC17F
	v_mfma_f32_16x16x16_bf16 v[32:35], a[192:193], a[48:49], v[32:35]// 0000000060F4: D3E10020 1C8261C0
	ds_write_b128 v6, v[168:171] offset:46336                  // 0000000060FC: D9BEB500 0000A806
	v_mfma_f32_16x16x16_bf16 v[32:35], a[194:195], a[50:51], v[32:35]// 000000006104: D3E10020 1C8265C2
	v_mfma_f32_16x16x16_bf16 v[32:35], a[196:197], a[52:53], v[32:35]// 00000000610C: D3E10020 1C8269C4
	v_mfma_f32_16x16x16_bf16 v[32:35], a[198:199], a[54:55], v[32:35]// 000000006114: D3E10020 1C826DC6
	v_mfma_f32_16x16x16_bf16 v[32:35], a[200:201], a[56:57], v[32:35]// 00000000611C: D3E10020 1C8271C8
	v_mfma_f32_16x16x16_bf16 v[32:35], a[202:203], a[58:59], v[32:35]// 000000006124: D3E10020 1C8275CA
	v_mfma_f32_16x16x16_bf16 v[32:35], a[204:205], a[60:61], v[32:35]// 00000000612C: D3E10020 1C8279CC
	v_mfma_f32_16x16x16_bf16 v[32:35], a[206:207], a[62:63], v[32:35]// 000000006134: D3E10020 1C827DCE
	v_mfma_f32_16x16x16_bf16 v[32:35], a[208:209], a[64:65], v[32:35]// 00000000613C: D3E10020 1C8281D0
	v_mfma_f32_16x16x16_bf16 v[32:35], a[210:211], a[66:67], v[32:35]// 000000006144: D3E10020 1C8285D2
	v_mfma_f32_16x16x16_bf16 v[32:35], a[212:213], a[68:69], v[32:35]// 00000000614C: D3E10020 1C8289D4
	v_mfma_f32_16x16x16_bf16 v[32:35], a[214:215], a[70:71], v[32:35]// 000000006154: D3E10020 1C828DD6
	s_waitcnt lgkmcnt(0)                                       // 00000000615C: BF8CC07F
	s_barrier                                                  // 000000006160: BF8A0000
	v_mov_b32_e32 v25, 0xff800000                              // 000000006164: 7E3202FF FF800000
	s_and_b32 s56, s48, 0xff                                   // 00000000616C: 8638FF30 000000FF
	v_mov_b32_e32 v24, s56                                     // 000000006174: 7E300238
	v_lshrrev_b32_e32 v20, 4, v0                               // 000000006178: 20280084
	v_mul_i32_i24_e32 v20, 4, v20                              // 00000000617C: 0C282884
	v_add_u32_e32 v21, 1, v20                                  // 000000006180: 682A2881
	v_add_u32_e32 v22, 2, v20                                  // 000000006184: 682C2882
	v_add_u32_e32 v23, 3, v20                                  // 000000006188: 682E2883
	v_cmp_lt_u32_e64 s[38:39], v20, v24                        // 00000000618C: D0C90026 00023114
	v_add_u32_e32 v20, 64, v20                                 // 000000006194: 682828C0
	s_nop 0                                                    // 000000006198: BF800000
	v_cndmask_b32_e64 v32, v25, v32, s[38:39]                  // 00000000619C: D1000020 009A4119
	v_cmp_lt_u32_e64 s[38:39], v21, v24                        // 0000000061A4: D0C90026 00023115
	v_add_u32_e32 v21, 64, v21                                 // 0000000061AC: 682A2AC0
	s_nop 0                                                    // 0000000061B0: BF800000
	v_cndmask_b32_e64 v33, v25, v33, s[38:39]                  // 0000000061B4: D1000021 009A4319
	v_cmp_lt_u32_e64 s[38:39], v22, v24                        // 0000000061BC: D0C90026 00023116
	v_add_u32_e32 v22, 64, v22                                 // 0000000061C4: 682C2CC0
	s_nop 0                                                    // 0000000061C8: BF800000
	v_cndmask_b32_e64 v34, v25, v34, s[38:39]                  // 0000000061CC: D1000022 009A4519
	v_cmp_lt_u32_e64 s[38:39], v23, v24                        // 0000000061D4: D0C90026 00023117
	v_add_u32_e32 v23, 64, v23                                 // 0000000061DC: 682E2EC0
	s_nop 0                                                    // 0000000061E0: BF800000
	v_cndmask_b32_e64 v35, v25, v35, s[38:39]                  // 0000000061E4: D1000023 009A4719
	v_max3_f32 v24, v32, v33, v32                              // 0000000061EC: D1D30018 04824320
	v_max3_f32 v24, v34, v35, v24                              // 0000000061F4: D1D30018 04624722
	ds_write_b32 v3, v24 offset:53504                          // 0000000061FC: D81AD100 00001803
	s_waitcnt lgkmcnt(0)                                       // 000000006204: BF8CC07F
	ds_read_b32 v20, v2 offset:53504                           // 000000006208: D86CD100 14000002
	ds_read_b32 v21, v2 offset:53568                           // 000000006210: D86CD140 15000002
	ds_read_b32 v22, v2 offset:53632                           // 000000006218: D86CD180 16000002
	ds_read_b32 v23, v2 offset:53696                           // 000000006220: D86CD1C0 17000002
	s_waitcnt lgkmcnt(0)                                       // 000000006228: BF8CC07F
	v_max3_f32 v24, v20, v21, v24                              // 00000000622C: D1D30018 04622B14
	v_max3_f32 v24, v22, v23, v24                              // 000000006234: D1D30018 04622F16
	ds_read_b128 a[144:147], v7 offset:37120                   // 00000000623C: DBFE9100 90000007
	ds_read_b128 a[148:151], v7 offset:38144                   // 000000006244: DBFE9500 94000007
	ds_read_b128 a[152:155], v7 offset:39168                   // 00000000624C: DBFE9900 98000007
	ds_read_b128 a[156:159], v7 offset:40192                   // 000000006254: DBFE9D00 9C000007
	ds_read_b128 a[160:163], v7 offset:41216                   // 00000000625C: DBFEA100 A0000007
	ds_read_b128 a[164:167], v7 offset:42240                   // 000000006264: DBFEA500 A4000007
	ds_read_b128 a[168:171], v7 offset:43264                   // 00000000626C: DBFEA900 A8000007
	ds_read_b128 a[172:175], v7 offset:44288                   // 000000006274: DBFEAD00 AC000007
	v_mov_b32_e32 v25, 0xff7fffff                              // 00000000627C: 7E3202FF FF7FFFFF
	v_cmp_eq_u32_e64 s[38:39], v25, v12                        // 000000006284: D0CA0026 00021919
	v_max_f32_e32 v20, v24, v12                                // 00000000628C: 16281918
	v_sub_f32_e32 v16, v12, v20                                // 000000006290: 0420290C
	v_cndmask_b32_e64 v16, v16, 0, s[38:39]                    // 000000006294: D1000010 00990110
	v_mov_b32_e32 v12, v20                                     // 00000000629C: 7E180314
	v_mul_f32_e32 v21, s5, v20                                 // 0000000062A0: 0A2A2805
	v_mul_f32_e32 v16, s5, v16                                 // 0000000062A4: 0A202005
	v_exp_f32_e32 v16, v16                                     // 0000000062A8: 7E204110
	v_fma_f32 v32, v32, s5, -v21                               // 0000000062AC: D1CB0020 84540B20
	v_fma_f32 v33, v33, s5, -v21                               // 0000000062B4: D1CB0021 84540B21
	v_fma_f32 v34, v34, s5, -v21                               // 0000000062BC: D1CB0022 84540B22
	v_fma_f32 v35, v35, s5, -v21                               // 0000000062C4: D1CB0023 84540B23
	v_exp_f32_e32 v32, v32                                     // 0000000062CC: 7E404120
	v_exp_f32_e32 v33, v33                                     // 0000000062D0: 7E424121
	v_exp_f32_e32 v34, v34                                     // 0000000062D4: 7E444122
	v_exp_f32_e32 v35, v35                                     // 0000000062D8: 7E464123
	v_mul_f32_e32 v14, v16, v14                                // 0000000062DC: 0A1C1D10
	v_mov_b32_e32 v22, v32                                     // 0000000062E0: 7E2C0320
	v_add_f32_e32 v22, v33, v22                                // 0000000062E4: 022C2D21
	v_add_f32_e32 v22, v34, v22                                // 0000000062E8: 022C2D22
	v_add_f32_e32 v22, v35, v22                                // 0000000062EC: 022C2D23
	v_add_f32_e32 v14, v22, v14                                // 0000000062F0: 021C1D16
	v_mov_b32_e32 v29, 0xffff0000                              // 0000000062F4: 7E3A02FF FFFF0000
	v_mov_b32_e32 v30, 0x7fff0000                              // 0000000062FC: 7E3C02FF 7FFF0000
	v_mov_b32_e32 v31, 0x7fff                                  // 000000006304: 7E3E02FF 00007FFF
	v_cmp_u_f32_e64 s[38:39], v32, v32                         // 00000000630C: D0480026 00024120
	v_add3_u32 v28, v32, v31, 1                                // 000000006314: D1FF001C 02063F20
	v_cndmask_b32_e64 v20, v28, v30, s[38:39]                  // 00000000631C: D1000014 009A3D1C
	v_cmp_u_f32_e64 s[38:39], v33, v33                         // 000000006324: D0480026 00024321
	v_add3_u32 v28, v33, v31, 1                                // 00000000632C: D1FF001C 02063F21
	v_cndmask_b32_e64 v21, v28, v30, s[38:39]                  // 000000006334: D1000015 009A3D1C
	v_perm_b32 v32, v21, v20, s52                              // 00000000633C: D1ED0020 00D22915
	v_cmp_u_f32_e64 s[38:39], v34, v34                         // 000000006344: D0480026 00024522
	v_add3_u32 v28, v34, v31, 1                                // 00000000634C: D1FF001C 02063F22
	v_cndmask_b32_e64 v20, v28, v30, s[38:39]                  // 000000006354: D1000014 009A3D1C
	v_cmp_u_f32_e64 s[38:39], v35, v35                         // 00000000635C: D0480026 00024723
	v_add3_u32 v28, v35, v31, 1                                // 000000006364: D1FF001C 02063F23
	v_cndmask_b32_e64 v21, v28, v30, s[38:39]                  // 00000000636C: D1000015 009A3D1C
	v_perm_b32 v33, v21, v20, s52                              // 000000006374: D1ED0021 00D22915
	s_nop 2                                                    // 00000000637C: BF800002
	v_mov_b32_e32 v22, v16                                     // 000000006380: 7E2C0310
	v_mov_b32_e32 v23, v16                                     // 000000006384: 7E2E0310
	v_pk_mul_f32 v[40:41], v[22:23], v[40:41]                  // 000000006388: D3B14028 18025116
	v_pk_mul_f32 v[42:43], v[22:23], v[42:43]                  // 000000006390: D3B1402A 18025516
	v_pk_mul_f32 v[44:45], v[22:23], v[44:45]                  // 000000006398: D3B1402C 18025916
	v_pk_mul_f32 v[46:47], v[22:23], v[46:47]                  // 0000000063A0: D3B1402E 18025D16
	v_pk_mul_f32 v[48:49], v[22:23], v[48:49]                  // 0000000063A8: D3B14030 18026116
	v_pk_mul_f32 v[50:51], v[22:23], v[50:51]                  // 0000000063B0: D3B14032 18026516
	v_pk_mul_f32 v[52:53], v[22:23], v[52:53]                  // 0000000063B8: D3B14034 18026916
	v_pk_mul_f32 v[54:55], v[22:23], v[54:55]                  // 0000000063C0: D3B14036 18026D16
	v_pk_mul_f32 v[56:57], v[22:23], v[56:57]                  // 0000000063C8: D3B14038 18027116
	v_pk_mul_f32 v[58:59], v[22:23], v[58:59]                  // 0000000063D0: D3B1403A 18027516
	v_pk_mul_f32 v[60:61], v[22:23], v[60:61]                  // 0000000063D8: D3B1403C 18027916
	v_pk_mul_f32 v[62:63], v[22:23], v[62:63]                  // 0000000063E0: D3B1403E 18027D16
	v_pk_mul_f32 v[64:65], v[22:23], v[64:65]                  // 0000000063E8: D3B14040 18028116
	v_pk_mul_f32 v[66:67], v[22:23], v[66:67]                  // 0000000063F0: D3B14042 18028516
	v_pk_mul_f32 v[68:69], v[22:23], v[68:69]                  // 0000000063F8: D3B14044 18028916
	v_pk_mul_f32 v[70:71], v[22:23], v[70:71]                  // 000000006400: D3B14046 18028D16
	v_pk_mul_f32 v[72:73], v[22:23], v[72:73]                  // 000000006408: D3B14048 18029116
	v_pk_mul_f32 v[74:75], v[22:23], v[74:75]                  // 000000006410: D3B1404A 18029516
	v_pk_mul_f32 v[76:77], v[22:23], v[76:77]                  // 000000006418: D3B1404C 18029916
	v_pk_mul_f32 v[78:79], v[22:23], v[78:79]                  // 000000006420: D3B1404E 18029D16
	v_pk_mul_f32 v[80:81], v[22:23], v[80:81]                  // 000000006428: D3B14050 1802A116
	v_pk_mul_f32 v[82:83], v[22:23], v[82:83]                  // 000000006430: D3B14052 1802A516
	v_pk_mul_f32 v[84:85], v[22:23], v[84:85]                  // 000000006438: D3B14054 1802A916
	v_pk_mul_f32 v[86:87], v[22:23], v[86:87]                  // 000000006440: D3B14056 1802AD16
	v_pk_mul_f32 v[88:89], v[22:23], v[88:89]                  // 000000006448: D3B14058 1802B116
	v_pk_mul_f32 v[90:91], v[22:23], v[90:91]                  // 000000006450: D3B1405A 1802B516
	v_pk_mul_f32 v[92:93], v[22:23], v[92:93]                  // 000000006458: D3B1405C 1802B916
	v_pk_mul_f32 v[94:95], v[22:23], v[94:95]                  // 000000006460: D3B1405E 1802BD16
	v_pk_mul_f32 v[96:97], v[22:23], v[96:97]                  // 000000006468: D3B14060 1802C116
	v_pk_mul_f32 v[98:99], v[22:23], v[98:99]                  // 000000006470: D3B14062 1802C516
	v_pk_mul_f32 v[100:101], v[22:23], v[100:101]              // 000000006478: D3B14064 1802C916
	v_pk_mul_f32 v[102:103], v[22:23], v[102:103]              // 000000006480: D3B14066 1802CD16
	v_pk_mul_f32 v[104:105], v[22:23], v[104:105]              // 000000006488: D3B14068 1802D116
	v_pk_mul_f32 v[106:107], v[22:23], v[106:107]              // 000000006490: D3B1406A 1802D516
	v_pk_mul_f32 v[108:109], v[22:23], v[108:109]              // 000000006498: D3B1406C 1802D916
	v_pk_mul_f32 v[110:111], v[22:23], v[110:111]              // 0000000064A0: D3B1406E 1802DD16
	v_pk_mul_f32 v[112:113], v[22:23], v[112:113]              // 0000000064A8: D3B14070 1802E116
	v_pk_mul_f32 v[114:115], v[22:23], v[114:115]              // 0000000064B0: D3B14072 1802E516
	v_pk_mul_f32 v[116:117], v[22:23], v[116:117]              // 0000000064B8: D3B14074 1802E916
	v_pk_mul_f32 v[118:119], v[22:23], v[118:119]              // 0000000064C0: D3B14076 1802ED16
	v_pk_mul_f32 v[120:121], v[22:23], v[120:121]              // 0000000064C8: D3B14078 1802F116
	v_pk_mul_f32 v[122:123], v[22:23], v[122:123]              // 0000000064D0: D3B1407A 1802F516
	v_pk_mul_f32 v[124:125], v[22:23], v[124:125]              // 0000000064D8: D3B1407C 1802F916
	v_pk_mul_f32 v[126:127], v[22:23], v[126:127]              // 0000000064E0: D3B1407E 1802FD16
	v_pk_mul_f32 v[128:129], v[22:23], v[128:129]              // 0000000064E8: D3B14080 18030116
	v_pk_mul_f32 v[130:131], v[22:23], v[130:131]              // 0000000064F0: D3B14082 18030516
	v_pk_mul_f32 v[132:133], v[22:23], v[132:133]              // 0000000064F8: D3B14084 18030916
	v_pk_mul_f32 v[134:135], v[22:23], v[134:135]              // 000000006500: D3B14086 18030D16
	v_pk_mul_f32 v[136:137], v[22:23], v[136:137]              // 000000006508: D3B14088 18031116
	v_pk_mul_f32 v[138:139], v[22:23], v[138:139]              // 000000006510: D3B1408A 18031516
	v_pk_mul_f32 v[140:141], v[22:23], v[140:141]              // 000000006518: D3B1408C 18031916
	v_pk_mul_f32 v[142:143], v[22:23], v[142:143]              // 000000006520: D3B1408E 18031D16
	v_pk_mul_f32 v[144:145], v[22:23], v[144:145]              // 000000006528: D3B14090 18032116
	v_pk_mul_f32 v[146:147], v[22:23], v[146:147]              // 000000006530: D3B14092 18032516
	v_pk_mul_f32 v[148:149], v[22:23], v[148:149]              // 000000006538: D3B14094 18032916
	v_pk_mul_f32 v[150:151], v[22:23], v[150:151]              // 000000006540: D3B14096 18032D16
	v_pk_mul_f32 v[152:153], v[22:23], v[152:153]              // 000000006548: D3B14098 18033116
	v_pk_mul_f32 v[154:155], v[22:23], v[154:155]              // 000000006550: D3B1409A 18033516
	v_pk_mul_f32 v[156:157], v[22:23], v[156:157]              // 000000006558: D3B1409C 18033916
	v_pk_mul_f32 v[158:159], v[22:23], v[158:159]              // 000000006560: D3B1409E 18033D16
	v_pk_mul_f32 v[160:161], v[22:23], v[160:161]              // 000000006568: D3B140A0 18034116
	v_pk_mul_f32 v[162:163], v[22:23], v[162:163]              // 000000006570: D3B140A2 18034516
	v_pk_mul_f32 v[164:165], v[22:23], v[164:165]              // 000000006578: D3B140A4 18034916
	v_pk_mul_f32 v[166:167], v[22:23], v[166:167]              // 000000006580: D3B140A6 18034D16
	s_waitcnt lgkmcnt(0)                                       // 000000006588: BF8CC07F
	v_mfma_f32_16x16x16_bf16 v[40:43], a[144:145], v[32:33], v[40:43]// 00000000658C: D3E10028 0CA24190
	ds_read_b128 a[176:179], v7 offset:45312                   // 000000006594: DBFEB100 B0000007
	ds_read_b128 a[180:183], v7 offset:46336                   // 00000000659C: DBFEB500 B4000007
	v_mfma_f32_16x16x16_bf16 v[44:47], a[146:147], v[32:33], v[44:47]// 0000000065A4: D3E1002C 0CB24192
	v_mfma_f32_16x16x16_bf16 v[48:51], a[148:149], v[32:33], v[48:51]// 0000000065AC: D3E10030 0CC24194
	v_mfma_f32_16x16x16_bf16 v[52:55], a[150:151], v[32:33], v[52:55]// 0000000065B4: D3E10034 0CD24196
	v_mfma_f32_16x16x16_bf16 v[56:59], a[152:153], v[32:33], v[56:59]// 0000000065BC: D3E10038 0CE24198
	ds_read_b128 a[184:187], v7 offset:47360                   // 0000000065C4: DBFEB900 B8000007
	ds_read_b128 a[188:191], v7 offset:48384                   // 0000000065CC: DBFEBD00 BC000007
	v_mfma_f32_16x16x16_bf16 v[60:63], a[154:155], v[32:33], v[60:63]// 0000000065D4: D3E1003C 0CF2419A
	v_mfma_f32_16x16x16_bf16 v[64:67], a[156:157], v[32:33], v[64:67]// 0000000065DC: D3E10040 0D02419C
	v_mfma_f32_16x16x16_bf16 v[68:71], a[158:159], v[32:33], v[68:71]// 0000000065E4: D3E10044 0D12419E
	v_mfma_f32_16x16x16_bf16 v[72:75], a[160:161], v[32:33], v[72:75]// 0000000065EC: D3E10048 0D2241A0
	ds_read_b128 a[192:195], v7 offset:49408                   // 0000000065F4: DBFEC100 C0000007
	ds_read_b128 a[196:199], v7 offset:50432                   // 0000000065FC: DBFEC500 C4000007
	v_mfma_f32_16x16x16_bf16 v[76:79], a[162:163], v[32:33], v[76:79]// 000000006604: D3E1004C 0D3241A2
	v_mfma_f32_16x16x16_bf16 v[80:83], a[164:165], v[32:33], v[80:83]// 00000000660C: D3E10050 0D4241A4
	v_mfma_f32_16x16x16_bf16 v[84:87], a[166:167], v[32:33], v[84:87]// 000000006614: D3E10054 0D5241A6
	v_mfma_f32_16x16x16_bf16 v[88:91], a[168:169], v[32:33], v[88:91]// 00000000661C: D3E10058 0D6241A8
	ds_read_b128 a[200:203], v7 offset:51456                   // 000000006624: DBFEC900 C8000007
	ds_read_b128 a[204:207], v7 offset:52480                   // 00000000662C: DBFECD00 CC000007
	v_mfma_f32_16x16x16_bf16 v[92:95], a[170:171], v[32:33], v[92:95]// 000000006634: D3E1005C 0D7241AA
	v_mfma_f32_16x16x16_bf16 v[96:99], a[172:173], v[32:33], v[96:99]// 00000000663C: D3E10060 0D8241AC
	v_mfma_f32_16x16x16_bf16 v[100:103], a[174:175], v[32:33], v[100:103]// 000000006644: D3E10064 0D9241AE
	s_waitcnt lgkmcnt(4)                                       // 00000000664C: BF8CC47F
	v_mfma_f32_16x16x16_bf16 v[104:107], a[176:177], v[32:33], v[104:107]// 000000006650: D3E10068 0DA241B0
	v_mfma_f32_16x16x16_bf16 v[108:111], a[178:179], v[32:33], v[108:111]// 000000006658: D3E1006C 0DB241B2
	v_mfma_f32_16x16x16_bf16 v[112:115], a[180:181], v[32:33], v[112:115]// 000000006660: D3E10070 0DC241B4
	s_waitcnt vmcnt(18) lgkmcnt(0)                             // 000000006668: BF8C4072
	s_barrier                                                  // 00000000666C: BF8A0000
	v_mfma_f32_16x16x16_bf16 v[116:119], a[182:183], v[32:33], v[116:119]// 000000006670: D3E10074 0DD241B6
	v_mfma_f32_16x16x16_bf16 v[120:123], a[184:185], v[32:33], v[120:123]// 000000006678: D3E10078 0DE241B8
	v_mfma_f32_16x16x16_bf16 v[124:127], a[186:187], v[32:33], v[124:127]// 000000006680: D3E1007C 0DF241BA
	v_mfma_f32_16x16x16_bf16 v[128:131], a[188:189], v[32:33], v[128:131]// 000000006688: D3E10080 0E0241BC
	v_mfma_f32_16x16x16_bf16 v[132:135], a[190:191], v[32:33], v[132:135]// 000000006690: D3E10084 0E1241BE
	v_mfma_f32_16x16x16_bf16 v[136:139], a[192:193], v[32:33], v[136:139]// 000000006698: D3E10088 0E2241C0
	v_mfma_f32_16x16x16_bf16 v[140:143], a[194:195], v[32:33], v[140:143]// 0000000066A0: D3E1008C 0E3241C2
	v_mfma_f32_16x16x16_bf16 v[144:147], a[196:197], v[32:33], v[144:147]// 0000000066A8: D3E10090 0E4241C4
	v_mfma_f32_16x16x16_bf16 v[148:151], a[198:199], v[32:33], v[148:151]// 0000000066B0: D3E10094 0E5241C6
	v_mfma_f32_16x16x16_bf16 v[152:155], a[200:201], v[32:33], v[152:155]// 0000000066B8: D3E10098 0E6241C8
	v_mfma_f32_16x16x16_bf16 v[156:159], a[202:203], v[32:33], v[156:159]// 0000000066C0: D3E1009C 0E7241CA
	v_mfma_f32_16x16x16_bf16 v[160:163], a[204:205], v[32:33], v[160:163]// 0000000066C8: D3E100A0 0E8241CC
	v_mfma_f32_16x16x16_bf16 v[164:167], a[206:207], v[32:33], v[164:167]// 0000000066D0: D3E100A4 0E9241CE
	s_nop 8                                                    // 0000000066D8: BF800008
	s_branch label_10F8                                        // 0000000066DC: BF820000

00000000000066e0 <label_10F8>:
	ds_write_b32 v3, v14 offset:55552                          // 0000000066E0: D81AD900 00000E03
	ds_write_b32 v3, v15 offset:56576                          // 0000000066E8: D81ADD00 00000F03
	s_waitcnt lgkmcnt(0)                                       // 0000000066F0: BF8CC07F
	ds_read_b32 v20, v2 offset:55552                           // 0000000066F4: D86CD900 14000002
	ds_read_b32 v21, v2 offset:55616                           // 0000000066FC: D86CD940 15000002
	ds_read_b32 v22, v2 offset:55680                           // 000000006704: D86CD980 16000002
	ds_read_b32 v23, v2 offset:55744                           // 00000000670C: D86CD9C0 17000002
	ds_read_b32 v24, v2 offset:56576                           // 000000006714: D86CDD00 18000002
	ds_read_b32 v25, v2 offset:56640                           // 00000000671C: D86CDD40 19000002
	ds_read_b32 v26, v2 offset:56704                           // 000000006724: D86CDD80 1A000002
	ds_read_b32 v27, v2 offset:56768                           // 00000000672C: D86CDDC0 1B000002
	s_waitcnt lgkmcnt(0)                                       // 000000006734: BF8CC07F
	v_mov_b32_e32 v14, 0                                       // 000000006738: 7E1C0280
	v_mov_b32_e32 v15, 0                                       // 00000000673C: 7E1E0280
	v_add_f32_e32 v14, v20, v14                                // 000000006740: 021C1D14
	v_add_f32_e32 v15, v24, v15                                // 000000006744: 021E1F18
	v_add_f32_e32 v14, v21, v14                                // 000000006748: 021C1D15
	v_add_f32_e32 v15, v25, v15                                // 00000000674C: 021E1F19
	v_add_f32_e32 v14, v22, v14                                // 000000006750: 021C1D16
	v_add_f32_e32 v15, v26, v15                                // 000000006754: 021E1F1A
	v_add_f32_e32 v14, v23, v14                                // 000000006758: 021C1D17
	v_add_f32_e32 v15, v27, v15                                // 00000000675C: 021E1F1B
	v_mov_b32_e32 v20, 0                                       // 000000006760: 7E280280
	v_cmp_eq_u32_e64 s[38:39], v20, v14                        // 000000006764: D0CA0026 00021D14
	v_cmp_eq_u32_e64 s[40:41], v20, v15                        // 00000000676C: D0CA0028 00021F14
	v_mul_f32_e64 v20, v12, s64                                // 000000006774: D1050014 0000810C
	v_mul_f32_e64 v22, v13, s64                                // 00000000677C: D1050016 0000810D
	v_log_f32_e32 v21, v14                                     // 000000006784: 7E2A430E
	v_log_f32_e32 v23, v15                                     // 000000006788: 7E2E430F
	v_cndmask_b32_e64 v14, v14, 1.0, s[38:39]                  // 00000000678C: D100000E 0099E50E
	v_cndmask_b32_e64 v15, v15, 1.0, s[40:41]                  // 000000006794: D100000F 00A1E50F
	s_nop 1                                                    // 00000000679C: BF800001
	v_rcp_f32_e32 v14, v14                                     // 0000000067A0: 7E1C450E
	v_rcp_f32_e32 v15, v15                                     // 0000000067A4: 7E1E450F
	s_nop 1                                                    // 0000000067A8: BF800001
	v_fma_f32 v24, v21, s63, v20                               // 0000000067AC: D1CB0018 04507F15
	v_fma_f32 v25, v23, s63, v22                               // 0000000067B4: D1CB0019 04587F17
	v_mul_f32_e32 v40, v14, v40                                // 0000000067BC: 0A50510E
	v_mul_f32_e32 v41, v14, v41                                // 0000000067C0: 0A52530E
	v_mul_f32_e32 v42, v14, v42                                // 0000000067C4: 0A54550E
	v_mul_f32_e32 v43, v14, v43                                // 0000000067C8: 0A56570E
	v_mul_f32_e32 v44, v14, v44                                // 0000000067CC: 0A58590E
	v_mul_f32_e32 v45, v14, v45                                // 0000000067D0: 0A5A5B0E
	v_mul_f32_e32 v46, v14, v46                                // 0000000067D4: 0A5C5D0E
	v_mul_f32_e32 v47, v14, v47                                // 0000000067D8: 0A5E5F0E
	v_mul_f32_e32 v48, v14, v48                                // 0000000067DC: 0A60610E
	v_mul_f32_e32 v49, v14, v49                                // 0000000067E0: 0A62630E
	v_mul_f32_e32 v50, v14, v50                                // 0000000067E4: 0A64650E
	v_mul_f32_e32 v51, v14, v51                                // 0000000067E8: 0A66670E
	v_mul_f32_e32 v52, v14, v52                                // 0000000067EC: 0A68690E
	v_mul_f32_e32 v53, v14, v53                                // 0000000067F0: 0A6A6B0E
	v_mul_f32_e32 v54, v14, v54                                // 0000000067F4: 0A6C6D0E
	v_mul_f32_e32 v55, v14, v55                                // 0000000067F8: 0A6E6F0E
	v_mul_f32_e32 v56, v14, v56                                // 0000000067FC: 0A70710E
	v_mul_f32_e32 v57, v14, v57                                // 000000006800: 0A72730E
	v_mul_f32_e32 v58, v14, v58                                // 000000006804: 0A74750E
	v_mul_f32_e32 v59, v14, v59                                // 000000006808: 0A76770E
	v_mul_f32_e32 v60, v14, v60                                // 00000000680C: 0A78790E
	v_mul_f32_e32 v61, v14, v61                                // 000000006810: 0A7A7B0E
	v_mul_f32_e32 v62, v14, v62                                // 000000006814: 0A7C7D0E
	v_mul_f32_e32 v63, v14, v63                                // 000000006818: 0A7E7F0E
	v_mul_f32_e32 v64, v14, v64                                // 00000000681C: 0A80810E
	v_mul_f32_e32 v65, v14, v65                                // 000000006820: 0A82830E
	v_mul_f32_e32 v66, v14, v66                                // 000000006824: 0A84850E
	v_mul_f32_e32 v67, v14, v67                                // 000000006828: 0A86870E
	v_mul_f32_e32 v68, v14, v68                                // 00000000682C: 0A88890E
	v_mul_f32_e32 v69, v14, v69                                // 000000006830: 0A8A8B0E
	v_mul_f32_e32 v70, v14, v70                                // 000000006834: 0A8C8D0E
	v_mul_f32_e32 v71, v14, v71                                // 000000006838: 0A8E8F0E
	v_mul_f32_e32 v72, v14, v72                                // 00000000683C: 0A90910E
	v_mul_f32_e32 v73, v14, v73                                // 000000006840: 0A92930E
	v_mul_f32_e32 v74, v14, v74                                // 000000006844: 0A94950E
	v_mul_f32_e32 v75, v14, v75                                // 000000006848: 0A96970E
	v_mul_f32_e32 v76, v14, v76                                // 00000000684C: 0A98990E
	v_mul_f32_e32 v77, v14, v77                                // 000000006850: 0A9A9B0E
	v_mul_f32_e32 v78, v14, v78                                // 000000006854: 0A9C9D0E
	v_mul_f32_e32 v79, v14, v79                                // 000000006858: 0A9E9F0E
	v_mul_f32_e32 v80, v14, v80                                // 00000000685C: 0AA0A10E
	v_mul_f32_e32 v81, v14, v81                                // 000000006860: 0AA2A30E
	v_mul_f32_e32 v82, v14, v82                                // 000000006864: 0AA4A50E
	v_mul_f32_e32 v83, v14, v83                                // 000000006868: 0AA6A70E
	v_mul_f32_e32 v84, v14, v84                                // 00000000686C: 0AA8A90E
	v_mul_f32_e32 v85, v14, v85                                // 000000006870: 0AAAAB0E
	v_mul_f32_e32 v86, v14, v86                                // 000000006874: 0AACAD0E
	v_mul_f32_e32 v87, v14, v87                                // 000000006878: 0AAEAF0E
	v_mul_f32_e32 v88, v14, v88                                // 00000000687C: 0AB0B10E
	v_mul_f32_e32 v89, v14, v89                                // 000000006880: 0AB2B30E
	v_mul_f32_e32 v90, v14, v90                                // 000000006884: 0AB4B50E
	v_mul_f32_e32 v91, v14, v91                                // 000000006888: 0AB6B70E
	v_mul_f32_e32 v92, v14, v92                                // 00000000688C: 0AB8B90E
	v_mul_f32_e32 v93, v14, v93                                // 000000006890: 0ABABB0E
	v_mul_f32_e32 v94, v14, v94                                // 000000006894: 0ABCBD0E
	v_mul_f32_e32 v95, v14, v95                                // 000000006898: 0ABEBF0E
	v_mul_f32_e32 v96, v14, v96                                // 00000000689C: 0AC0C10E
	v_mul_f32_e32 v97, v14, v97                                // 0000000068A0: 0AC2C30E
	v_mul_f32_e32 v98, v14, v98                                // 0000000068A4: 0AC4C50E
	v_mul_f32_e32 v99, v14, v99                                // 0000000068A8: 0AC6C70E
	v_mul_f32_e32 v100, v14, v100                              // 0000000068AC: 0AC8C90E
	v_mul_f32_e32 v101, v14, v101                              // 0000000068B0: 0ACACB0E
	v_mul_f32_e32 v102, v14, v102                              // 0000000068B4: 0ACCCD0E
	v_mul_f32_e32 v103, v14, v103                              // 0000000068B8: 0ACECF0E
	v_mul_f32_e32 v104, v14, v104                              // 0000000068BC: 0AD0D10E
	v_mul_f32_e32 v105, v14, v105                              // 0000000068C0: 0AD2D30E
	v_mul_f32_e32 v106, v14, v106                              // 0000000068C4: 0AD4D50E
	v_mul_f32_e32 v107, v14, v107                              // 0000000068C8: 0AD6D70E
	v_mul_f32_e32 v108, v14, v108                              // 0000000068CC: 0AD8D90E
	v_mul_f32_e32 v109, v14, v109                              // 0000000068D0: 0ADADB0E
	v_mul_f32_e32 v110, v14, v110                              // 0000000068D4: 0ADCDD0E
	v_mul_f32_e32 v111, v14, v111                              // 0000000068D8: 0ADEDF0E
	v_mul_f32_e32 v112, v14, v112                              // 0000000068DC: 0AE0E10E
	v_mul_f32_e32 v113, v14, v113                              // 0000000068E0: 0AE2E30E
	v_mul_f32_e32 v114, v14, v114                              // 0000000068E4: 0AE4E50E
	v_mul_f32_e32 v115, v14, v115                              // 0000000068E8: 0AE6E70E
	v_mul_f32_e32 v116, v14, v116                              // 0000000068EC: 0AE8E90E
	v_mul_f32_e32 v117, v14, v117                              // 0000000068F0: 0AEAEB0E
	v_mul_f32_e32 v118, v14, v118                              // 0000000068F4: 0AECED0E
	v_mul_f32_e32 v119, v14, v119                              // 0000000068F8: 0AEEEF0E
	v_mul_f32_e32 v120, v14, v120                              // 0000000068FC: 0AF0F10E
	v_mul_f32_e32 v121, v14, v121                              // 000000006900: 0AF2F30E
	v_mul_f32_e32 v122, v14, v122                              // 000000006904: 0AF4F50E
	v_mul_f32_e32 v123, v14, v123                              // 000000006908: 0AF6F70E
	v_mul_f32_e32 v124, v14, v124                              // 00000000690C: 0AF8F90E
	v_mul_f32_e32 v125, v14, v125                              // 000000006910: 0AFAFB0E
	v_mul_f32_e32 v126, v14, v126                              // 000000006914: 0AFCFD0E
	v_mul_f32_e32 v127, v14, v127                              // 000000006918: 0AFEFF0E
	v_mul_f32_e32 v128, v14, v128                              // 00000000691C: 0B01010E
	v_mul_f32_e32 v129, v14, v129                              // 000000006920: 0B03030E
	v_mul_f32_e32 v130, v14, v130                              // 000000006924: 0B05050E
	v_mul_f32_e32 v131, v14, v131                              // 000000006928: 0B07070E
	v_mul_f32_e32 v132, v14, v132                              // 00000000692C: 0B09090E
	v_mul_f32_e32 v133, v14, v133                              // 000000006930: 0B0B0B0E
	v_mul_f32_e32 v134, v14, v134                              // 000000006934: 0B0D0D0E
	v_mul_f32_e32 v135, v14, v135                              // 000000006938: 0B0F0F0E
	v_mul_f32_e32 v136, v14, v136                              // 00000000693C: 0B11110E
	v_mul_f32_e32 v137, v14, v137                              // 000000006940: 0B13130E
	v_mul_f32_e32 v138, v14, v138                              // 000000006944: 0B15150E
	v_mul_f32_e32 v139, v14, v139                              // 000000006948: 0B17170E
	v_mul_f32_e32 v140, v14, v140                              // 00000000694C: 0B19190E
	v_mul_f32_e32 v141, v14, v141                              // 000000006950: 0B1B1B0E
	v_mul_f32_e32 v142, v14, v142                              // 000000006954: 0B1D1D0E
	v_mul_f32_e32 v143, v14, v143                              // 000000006958: 0B1F1F0E
	v_mul_f32_e32 v144, v14, v144                              // 00000000695C: 0B21210E
	v_mul_f32_e32 v145, v14, v145                              // 000000006960: 0B23230E
	v_mul_f32_e32 v146, v14, v146                              // 000000006964: 0B25250E
	v_mul_f32_e32 v147, v14, v147                              // 000000006968: 0B27270E
	v_mul_f32_e32 v148, v14, v148                              // 00000000696C: 0B29290E
	v_mul_f32_e32 v149, v14, v149                              // 000000006970: 0B2B2B0E
	v_mul_f32_e32 v150, v14, v150                              // 000000006974: 0B2D2D0E
	v_mul_f32_e32 v151, v14, v151                              // 000000006978: 0B2F2F0E
	v_mul_f32_e32 v152, v14, v152                              // 00000000697C: 0B31310E
	v_mul_f32_e32 v153, v14, v153                              // 000000006980: 0B33330E
	v_mul_f32_e32 v154, v14, v154                              // 000000006984: 0B35350E
	v_mul_f32_e32 v155, v14, v155                              // 000000006988: 0B37370E
	v_mul_f32_e32 v156, v14, v156                              // 00000000698C: 0B39390E
	v_mul_f32_e32 v157, v14, v157                              // 000000006990: 0B3B3B0E
	v_mul_f32_e32 v158, v14, v158                              // 000000006994: 0B3D3D0E
	v_mul_f32_e32 v159, v14, v159                              // 000000006998: 0B3F3F0E
	v_mul_f32_e32 v160, v14, v160                              // 00000000699C: 0B41410E
	v_mul_f32_e32 v161, v14, v161                              // 0000000069A0: 0B43430E
	v_mul_f32_e32 v162, v14, v162                              // 0000000069A4: 0B45450E
	v_mul_f32_e32 v163, v14, v163                              // 0000000069A8: 0B47470E
	v_mul_f32_e32 v164, v14, v164                              // 0000000069AC: 0B49490E
	v_mul_f32_e32 v165, v14, v165                              // 0000000069B0: 0B4B4B0E
	v_mul_f32_e32 v166, v14, v166                              // 0000000069B4: 0B4D4D0E
	v_mul_f32_e32 v167, v14, v167                              // 0000000069B8: 0B4F4F0E
	s_cmp_le_u32 s67, 1                                        // 0000000069BC: BF0B8143
	s_cbranch_scc0 label_16B3                                  // 0000000069C0: BF840502
	s_mul_i32 s75, 0x400, s65                                  // 0000000069C4: 924B41FF 00000400
	s_mul_i32 s76, s67, s75                                    // 0000000069CC: 924C4B43
	s_add_u32 s56, s80, s79                                    // 0000000069D0: 80384F50
	v_mov_b32_e32 v20, s56                                     // 0000000069D4: 7E280238
	v_mul_lo_u32 v21, s76, v20                                 // 0000000069D8: D2850015 0002284C
	v_mul_hi_u32 v22, s76, v20                                 // 0000000069E0: D2860016 0002284C
	s_nop 2                                                    // 0000000069E8: BF800002
	v_readfirstlane_b32 s56, v21                               // 0000000069EC: 7E700515
	v_readfirstlane_b32 s57, v22                               // 0000000069F0: 7E720516
	s_nop 4                                                    // 0000000069F4: BF800004
	s_add_u32 s88, s56, s88                                    // 0000000069F8: 80585838
	s_addc_u32 s89, s57, s89                                   // 0000000069FC: 82595939
	s_sub_u32 s56, s81, s80                                    // 000000006A00: 80B85051
	s_mul_i32 s56, s56, s76                                    // 000000006A04: 92384C38
	s_mov_b32 s90, s56                                         // 000000006A08: BEDA0038
	v_and_b32_e32 v20, 7, v0                                   // 000000006A0C: 26280087
	v_lshlrev_b32_e32 v18, 4, v20                              // 000000006A10: 24242884
	v_lshrrev_b32_e32 v20, 3, v0                               // 000000006A14: 20280083
	v_mul_i32_i24_e32 v20, 0x400, v20                          // 000000006A18: 0C2828FF 00000400
	v_add_u32_e32 v18, v18, v20                                // 000000006A20: 68242912
	s_mul_i32 s56, s4, s75                                     // 000000006A24: 92384B04
	v_add_u32_e64 v18, v18, s56                                // 000000006A28: D1340012 00007112
	s_mul_i32 s56, s7, 0x4000                                  // 000000006A30: 9238FF07 00004000
	v_add_u32_e64 v18, v18, s56                                // 000000006A38: D1340012 00007112
	v_mov_b32_e32 v19, v18                                     // 000000006A40: 7E260312
	s_waitcnt vmcnt(0) lgkmcnt(0)                              // 000000006A44: BF8C0070
	s_barrier                                                  // 000000006A48: BF8A0000
	s_mul_i32 s75, 0x400, s65                                  // 000000006A4C: 924B41FF 00000400
	s_mul_i32 s76, s67, s75                                    // 000000006A54: 924C4B43
	v_lshrrev_b32_e32 v20, 4, v0                               // 000000006A58: 20280084
	v_mul_i32_i24_e32 v5, 0x48, v20                            // 000000006A5C: 0C0A28FF 00000048
	v_and_b32_e32 v20, 15, v0                                  // 000000006A64: 2628008F
	v_mul_i32_i24_e32 v20, 2, v20                              // 000000006A68: 0C282882
	v_add_u32_e32 v5, v20, v5                                  // 000000006A6C: 680A0B14
	s_mul_i32 s56, s7, 0x480                                   // 000000006A70: 9238FF07 00000480
	v_add_u32_e32 v5, s56, v5                                  // 000000006A78: 680A0A38
	v_lshlrev_b32_e32 v5, 2, v5                                // 000000006A7C: 240A0A82
	v_lshrrev_b32_e32 v20, 3, v0                               // 000000006A80: 20280083
	v_mul_i32_i24_e32 v4, 2, v20                               // 000000006A84: 0C082882
	v_and_b32_e32 v20, 7, v0                                   // 000000006A88: 26280087
	v_mul_i32_i24_e32 v20, 36, v20                             // 000000006A8C: 0C2828A4
	v_add_u32_e32 v4, v20, v4                                  // 000000006A90: 68080914
	s_mul_i32 s56, s7, 0x480                                   // 000000006A94: 9238FF07 00000480
	v_add_u32_e32 v4, s56, v4                                  // 000000006A9C: 68080838
	v_lshlrev_b32_e32 v4, 2, v4                                // 000000006AA0: 24080882
	v_mov_b32_e32 v29, 0xffff0000                              // 000000006AA4: 7E3A02FF FFFF0000
	v_mov_b32_e32 v30, 0x7fff0000                              // 000000006AAC: 7E3C02FF 7FFF0000
	v_mov_b32_e32 v31, 0x7fff                                  // 000000006AB4: 7E3E02FF 00007FFF
	s_mov_b32 s56, 0                                           // 000000006ABC: BEB80080
	v_add_u32_e64 v19, v19, s56                                // 000000006AC0: D1340013 00007113
	v_mov_b32_e32 v24, v40                                     // 000000006AC8: 7E300328
	v_mov_b32_e32 v25, v44                                     // 000000006ACC: 7E32032C
	v_mov_b32_e32 v26, v48                                     // 000000006AD0: 7E340330
	v_mov_b32_e32 v27, v52                                     // 000000006AD4: 7E360334
	v_cmp_u_f32_e64 s[38:39], v24, v24                         // 000000006AD8: D0480026 00023118
	v_add3_u32 v28, v24, v31, 1                                // 000000006AE0: D1FF001C 02063F18
	v_cndmask_b32_e64 v20, v28, v30, s[38:39]                  // 000000006AE8: D1000014 009A3D1C
	v_cmp_u_f32_e64 s[38:39], v25, v25                         // 000000006AF0: D0480026 00023319
	v_add3_u32 v28, v25, v31, 1                                // 000000006AF8: D1FF001C 02063F19
	v_cndmask_b32_e64 v21, v28, v30, s[38:39]                  // 000000006B00: D1000015 009A3D1C
	v_perm_b32 v24, v21, v20, s52                              // 000000006B08: D1ED0018 00D22915
	v_cmp_u_f32_e64 s[38:39], v26, v26                         // 000000006B10: D0480026 0002351A
	v_add3_u32 v28, v26, v31, 1                                // 000000006B18: D1FF001C 02063F1A
	v_cndmask_b32_e64 v20, v28, v30, s[38:39]                  // 000000006B20: D1000014 009A3D1C
	v_cmp_u_f32_e64 s[38:39], v27, v27                         // 000000006B28: D0480026 0002371B
	v_add3_u32 v28, v27, v31, 1                                // 000000006B30: D1FF001C 02063F1B
	v_cndmask_b32_e64 v21, v28, v30, s[38:39]                  // 000000006B38: D1000015 009A3D1C
	v_perm_b32 v25, v21, v20, s52                              // 000000006B40: D1ED0019 00D22915
	ds_write_b64 v5, v[24:25]                                  // 000000006B48: D89A0000 00001805
	v_mov_b32_e32 v24, v41                                     // 000000006B50: 7E300329
	v_mov_b32_e32 v25, v45                                     // 000000006B54: 7E32032D
	v_mov_b32_e32 v26, v49                                     // 000000006B58: 7E340331
	v_mov_b32_e32 v27, v53                                     // 000000006B5C: 7E360335
	v_cmp_u_f32_e64 s[38:39], v24, v24                         // 000000006B60: D0480026 00023118
	v_add3_u32 v28, v24, v31, 1                                // 000000006B68: D1FF001C 02063F18
	v_cndmask_b32_e64 v20, v28, v30, s[38:39]                  // 000000006B70: D1000014 009A3D1C
	v_cmp_u_f32_e64 s[38:39], v25, v25                         // 000000006B78: D0480026 00023319
	v_add3_u32 v28, v25, v31, 1                                // 000000006B80: D1FF001C 02063F19
	v_cndmask_b32_e64 v21, v28, v30, s[38:39]                  // 000000006B88: D1000015 009A3D1C
	v_perm_b32 v24, v21, v20, s52                              // 000000006B90: D1ED0018 00D22915
	v_cmp_u_f32_e64 s[38:39], v26, v26                         // 000000006B98: D0480026 0002351A
	v_add3_u32 v28, v26, v31, 1                                // 000000006BA0: D1FF001C 02063F1A
	v_cndmask_b32_e64 v20, v28, v30, s[38:39]                  // 000000006BA8: D1000014 009A3D1C
	v_cmp_u_f32_e64 s[38:39], v27, v27                         // 000000006BB0: D0480026 0002371B
	v_add3_u32 v28, v27, v31, 1                                // 000000006BB8: D1FF001C 02063F1B
	v_cndmask_b32_e64 v21, v28, v30, s[38:39]                  // 000000006BC0: D1000015 009A3D1C
	v_perm_b32 v25, v21, v20, s52                              // 000000006BC8: D1ED0019 00D22915
	ds_write_b64 v5, v[24:25] offset:1152                      // 000000006BD0: D89A0480 00001805
	v_mov_b32_e32 v24, v42                                     // 000000006BD8: 7E30032A
	v_mov_b32_e32 v25, v46                                     // 000000006BDC: 7E32032E
	v_mov_b32_e32 v26, v50                                     // 000000006BE0: 7E340332
	v_mov_b32_e32 v27, v54                                     // 000000006BE4: 7E360336
	v_cmp_u_f32_e64 s[38:39], v24, v24                         // 000000006BE8: D0480026 00023118
	v_add3_u32 v28, v24, v31, 1                                // 000000006BF0: D1FF001C 02063F18
	v_cndmask_b32_e64 v20, v28, v30, s[38:39]                  // 000000006BF8: D1000014 009A3D1C
	v_cmp_u_f32_e64 s[38:39], v25, v25                         // 000000006C00: D0480026 00023319
	v_add3_u32 v28, v25, v31, 1                                // 000000006C08: D1FF001C 02063F19
	v_cndmask_b32_e64 v21, v28, v30, s[38:39]                  // 000000006C10: D1000015 009A3D1C
	v_perm_b32 v24, v21, v20, s52                              // 000000006C18: D1ED0018 00D22915
	v_cmp_u_f32_e64 s[38:39], v26, v26                         // 000000006C20: D0480026 0002351A
	v_add3_u32 v28, v26, v31, 1                                // 000000006C28: D1FF001C 02063F1A
	v_cndmask_b32_e64 v20, v28, v30, s[38:39]                  // 000000006C30: D1000014 009A3D1C
	v_cmp_u_f32_e64 s[38:39], v27, v27                         // 000000006C38: D0480026 0002371B
	v_add3_u32 v28, v27, v31, 1                                // 000000006C40: D1FF001C 02063F1B
	v_cndmask_b32_e64 v21, v28, v30, s[38:39]                  // 000000006C48: D1000015 009A3D1C
	v_perm_b32 v25, v21, v20, s52                              // 000000006C50: D1ED0019 00D22915
	ds_write_b64 v5, v[24:25] offset:144                       // 000000006C58: D89A0090 00001805
	v_mov_b32_e32 v24, v43                                     // 000000006C60: 7E30032B
	v_mov_b32_e32 v25, v47                                     // 000000006C64: 7E32032F
	v_mov_b32_e32 v26, v51                                     // 000000006C68: 7E340333
	v_mov_b32_e32 v27, v55                                     // 000000006C6C: 7E360337
	v_cmp_u_f32_e64 s[38:39], v24, v24                         // 000000006C70: D0480026 00023118
	v_add3_u32 v28, v24, v31, 1                                // 000000006C78: D1FF001C 02063F18
	v_cndmask_b32_e64 v20, v28, v30, s[38:39]                  // 000000006C80: D1000014 009A3D1C
	v_cmp_u_f32_e64 s[38:39], v25, v25                         // 000000006C88: D0480026 00023319
	v_add3_u32 v28, v25, v31, 1                                // 000000006C90: D1FF001C 02063F19
	v_cndmask_b32_e64 v21, v28, v30, s[38:39]                  // 000000006C98: D1000015 009A3D1C
	v_perm_b32 v24, v21, v20, s52                              // 000000006CA0: D1ED0018 00D22915
	v_cmp_u_f32_e64 s[38:39], v26, v26                         // 000000006CA8: D0480026 0002351A
	v_add3_u32 v28, v26, v31, 1                                // 000000006CB0: D1FF001C 02063F1A
	v_cndmask_b32_e64 v20, v28, v30, s[38:39]                  // 000000006CB8: D1000014 009A3D1C
	v_cmp_u_f32_e64 s[38:39], v27, v27                         // 000000006CC0: D0480026 0002371B
	v_add3_u32 v28, v27, v31, 1                                // 000000006CC8: D1FF001C 02063F1B
	v_cndmask_b32_e64 v21, v28, v30, s[38:39]                  // 000000006CD0: D1000015 009A3D1C
	v_perm_b32 v25, v21, v20, s52                              // 000000006CD8: D1ED0019 00D22915
	ds_write_b64 v5, v[24:25] offset:1296                      // 000000006CE0: D89A0510 00001805
	v_mov_b32_e32 v24, v56                                     // 000000006CE8: 7E300338
	v_mov_b32_e32 v25, v60                                     // 000000006CEC: 7E32033C
	v_mov_b32_e32 v26, v64                                     // 000000006CF0: 7E340340
	v_mov_b32_e32 v27, v68                                     // 000000006CF4: 7E360344
	v_cmp_u_f32_e64 s[38:39], v24, v24                         // 000000006CF8: D0480026 00023118
	v_add3_u32 v28, v24, v31, 1                                // 000000006D00: D1FF001C 02063F18
	v_cndmask_b32_e64 v20, v28, v30, s[38:39]                  // 000000006D08: D1000014 009A3D1C
	v_cmp_u_f32_e64 s[38:39], v25, v25                         // 000000006D10: D0480026 00023319
	v_add3_u32 v28, v25, v31, 1                                // 000000006D18: D1FF001C 02063F19
	v_cndmask_b32_e64 v21, v28, v30, s[38:39]                  // 000000006D20: D1000015 009A3D1C
	v_perm_b32 v24, v21, v20, s52                              // 000000006D28: D1ED0018 00D22915
	v_cmp_u_f32_e64 s[38:39], v26, v26                         // 000000006D30: D0480026 0002351A
	v_add3_u32 v28, v26, v31, 1                                // 000000006D38: D1FF001C 02063F1A
	v_cndmask_b32_e64 v20, v28, v30, s[38:39]                  // 000000006D40: D1000014 009A3D1C
	v_cmp_u_f32_e64 s[38:39], v27, v27                         // 000000006D48: D0480026 0002371B
	v_add3_u32 v28, v27, v31, 1                                // 000000006D50: D1FF001C 02063F1B
	v_cndmask_b32_e64 v21, v28, v30, s[38:39]                  // 000000006D58: D1000015 009A3D1C
	v_perm_b32 v25, v21, v20, s52                              // 000000006D60: D1ED0019 00D22915
	ds_write_b64 v5, v[24:25] offset:2304                      // 000000006D68: D89A0900 00001805
	v_mov_b32_e32 v24, v57                                     // 000000006D70: 7E300339
	v_mov_b32_e32 v25, v61                                     // 000000006D74: 7E32033D
	v_mov_b32_e32 v26, v65                                     // 000000006D78: 7E340341
	v_mov_b32_e32 v27, v69                                     // 000000006D7C: 7E360345
	v_cmp_u_f32_e64 s[38:39], v24, v24                         // 000000006D80: D0480026 00023118
	v_add3_u32 v28, v24, v31, 1                                // 000000006D88: D1FF001C 02063F18
	v_cndmask_b32_e64 v20, v28, v30, s[38:39]                  // 000000006D90: D1000014 009A3D1C
	v_cmp_u_f32_e64 s[38:39], v25, v25                         // 000000006D98: D0480026 00023319
	v_add3_u32 v28, v25, v31, 1                                // 000000006DA0: D1FF001C 02063F19
	v_cndmask_b32_e64 v21, v28, v30, s[38:39]                  // 000000006DA8: D1000015 009A3D1C
	v_perm_b32 v24, v21, v20, s52                              // 000000006DB0: D1ED0018 00D22915
	v_cmp_u_f32_e64 s[38:39], v26, v26                         // 000000006DB8: D0480026 0002351A
	v_add3_u32 v28, v26, v31, 1                                // 000000006DC0: D1FF001C 02063F1A
	v_cndmask_b32_e64 v20, v28, v30, s[38:39]                  // 000000006DC8: D1000014 009A3D1C
	v_cmp_u_f32_e64 s[38:39], v27, v27                         // 000000006DD0: D0480026 0002371B
	v_add3_u32 v28, v27, v31, 1                                // 000000006DD8: D1FF001C 02063F1B
	v_cndmask_b32_e64 v21, v28, v30, s[38:39]                  // 000000006DE0: D1000015 009A3D1C
	v_perm_b32 v25, v21, v20, s52                              // 000000006DE8: D1ED0019 00D22915
	ds_write_b64 v5, v[24:25] offset:3456                      // 000000006DF0: D89A0D80 00001805
	v_mov_b32_e32 v24, v58                                     // 000000006DF8: 7E30033A
	v_mov_b32_e32 v25, v62                                     // 000000006DFC: 7E32033E
	v_mov_b32_e32 v26, v66                                     // 000000006E00: 7E340342
	v_mov_b32_e32 v27, v70                                     // 000000006E04: 7E360346
	v_cmp_u_f32_e64 s[38:39], v24, v24                         // 000000006E08: D0480026 00023118
	v_add3_u32 v28, v24, v31, 1                                // 000000006E10: D1FF001C 02063F18
	v_cndmask_b32_e64 v20, v28, v30, s[38:39]                  // 000000006E18: D1000014 009A3D1C
	v_cmp_u_f32_e64 s[38:39], v25, v25                         // 000000006E20: D0480026 00023319
	v_add3_u32 v28, v25, v31, 1                                // 000000006E28: D1FF001C 02063F19
	v_cndmask_b32_e64 v21, v28, v30, s[38:39]                  // 000000006E30: D1000015 009A3D1C
	v_perm_b32 v24, v21, v20, s52                              // 000000006E38: D1ED0018 00D22915
	v_cmp_u_f32_e64 s[38:39], v26, v26                         // 000000006E40: D0480026 0002351A
	v_add3_u32 v28, v26, v31, 1                                // 000000006E48: D1FF001C 02063F1A
	v_cndmask_b32_e64 v20, v28, v30, s[38:39]                  // 000000006E50: D1000014 009A3D1C
	v_cmp_u_f32_e64 s[38:39], v27, v27                         // 000000006E58: D0480026 0002371B
	v_add3_u32 v28, v27, v31, 1                                // 000000006E60: D1FF001C 02063F1B
	v_cndmask_b32_e64 v21, v28, v30, s[38:39]                  // 000000006E68: D1000015 009A3D1C
	v_perm_b32 v25, v21, v20, s52                              // 000000006E70: D1ED0019 00D22915
	ds_write_b64 v5, v[24:25] offset:2448                      // 000000006E78: D89A0990 00001805
	v_mov_b32_e32 v24, v59                                     // 000000006E80: 7E30033B
	v_mov_b32_e32 v25, v63                                     // 000000006E84: 7E32033F
	v_mov_b32_e32 v26, v67                                     // 000000006E88: 7E340343
	v_mov_b32_e32 v27, v71                                     // 000000006E8C: 7E360347
	v_cmp_u_f32_e64 s[38:39], v24, v24                         // 000000006E90: D0480026 00023118
	v_add3_u32 v28, v24, v31, 1                                // 000000006E98: D1FF001C 02063F18
	v_cndmask_b32_e64 v20, v28, v30, s[38:39]                  // 000000006EA0: D1000014 009A3D1C
	v_cmp_u_f32_e64 s[38:39], v25, v25                         // 000000006EA8: D0480026 00023319
	v_add3_u32 v28, v25, v31, 1                                // 000000006EB0: D1FF001C 02063F19
	v_cndmask_b32_e64 v21, v28, v30, s[38:39]                  // 000000006EB8: D1000015 009A3D1C
	v_perm_b32 v24, v21, v20, s52                              // 000000006EC0: D1ED0018 00D22915
	v_cmp_u_f32_e64 s[38:39], v26, v26                         // 000000006EC8: D0480026 0002351A
	v_add3_u32 v28, v26, v31, 1                                // 000000006ED0: D1FF001C 02063F1A
	v_cndmask_b32_e64 v20, v28, v30, s[38:39]                  // 000000006ED8: D1000014 009A3D1C
	v_cmp_u_f32_e64 s[38:39], v27, v27                         // 000000006EE0: D0480026 0002371B
	v_add3_u32 v28, v27, v31, 1                                // 000000006EE8: D1FF001C 02063F1B
	v_cndmask_b32_e64 v21, v28, v30, s[38:39]                  // 000000006EF0: D1000015 009A3D1C
	v_perm_b32 v25, v21, v20, s52                              // 000000006EF8: D1ED0019 00D22915
	ds_write_b64 v5, v[24:25] offset:3600                      // 000000006F00: D89A0E10 00001805
	s_waitcnt lgkmcnt(4)                                       // 000000006F08: BF8CC47F
	ds_read_b64 v[40:41], v4                                   // 000000006F0C: D8EC0000 28000004
	ds_read_b64 v[44:45], v4 offset:64                         // 000000006F14: D8EC0040 2C000004
	ds_read_b64 v[42:43], v4 offset:1152                       // 000000006F1C: D8EC0480 2A000004
	ds_read_b64 v[46:47], v4 offset:1216                       // 000000006F24: D8EC04C0 2E000004
	s_waitcnt lgkmcnt(4)                                       // 000000006F2C: BF8CC47F
	ds_read_b64 v[48:49], v4 offset:2304                       // 000000006F30: D8EC0900 30000004
	ds_read_b64 v[52:53], v4 offset:2368                       // 000000006F38: D8EC0940 34000004
	ds_read_b64 v[50:51], v4 offset:3456                       // 000000006F40: D8EC0D80 32000004
	ds_read_b64 v[54:55], v4 offset:3520                       // 000000006F48: D8EC0DC0 36000004
	s_waitcnt lgkmcnt(0)                                       // 000000006F50: BF8CC07F
	v_mov_b32_e32 v18, v19                                     // 000000006F54: 7E240313
	buffer_store_dwordx4 v[40:43], v18, s[88:91], 0 offen      // 000000006F58: E07C1000 80162812
	buffer_store_dwordx4 v[48:51], v18, s[88:91], 0 offen offset:128// 000000006F60: E07C1080 80163012
	v_add_u32_e32 v18, 0x2000, v18                             // 000000006F68: 682424FF 00002000
	buffer_store_dwordx4 v[44:47], v18, s[88:91], 0 offen      // 000000006F70: E07C1000 80162C12
	buffer_store_dwordx4 v[52:55], v18, s[88:91], 0 offen offset:128// 000000006F78: E07C1080 80163412
	v_add_u32_e32 v18, 0x2000, v18                             // 000000006F80: 682424FF 00002000
	v_mov_b32_e32 v24, v72                                     // 000000006F88: 7E300348
	v_mov_b32_e32 v25, v76                                     // 000000006F8C: 7E32034C
	v_mov_b32_e32 v26, v80                                     // 000000006F90: 7E340350
	v_mov_b32_e32 v27, v84                                     // 000000006F94: 7E360354
	v_cmp_u_f32_e64 s[38:39], v24, v24                         // 000000006F98: D0480026 00023118
	v_add3_u32 v28, v24, v31, 1                                // 000000006FA0: D1FF001C 02063F18
	v_cndmask_b32_e64 v20, v28, v30, s[38:39]                  // 000000006FA8: D1000014 009A3D1C
	v_cmp_u_f32_e64 s[38:39], v25, v25                         // 000000006FB0: D0480026 00023319
	v_add3_u32 v28, v25, v31, 1                                // 000000006FB8: D1FF001C 02063F19
	v_cndmask_b32_e64 v21, v28, v30, s[38:39]                  // 000000006FC0: D1000015 009A3D1C
	v_perm_b32 v24, v21, v20, s52                              // 000000006FC8: D1ED0018 00D22915
	v_cmp_u_f32_e64 s[38:39], v26, v26                         // 000000006FD0: D0480026 0002351A
	v_add3_u32 v28, v26, v31, 1                                // 000000006FD8: D1FF001C 02063F1A
	v_cndmask_b32_e64 v20, v28, v30, s[38:39]                  // 000000006FE0: D1000014 009A3D1C
	v_cmp_u_f32_e64 s[38:39], v27, v27                         // 000000006FE8: D0480026 0002371B
	v_add3_u32 v28, v27, v31, 1                                // 000000006FF0: D1FF001C 02063F1B
	v_cndmask_b32_e64 v21, v28, v30, s[38:39]                  // 000000006FF8: D1000015 009A3D1C
	v_perm_b32 v25, v21, v20, s52                              // 000000007000: D1ED0019 00D22915
	ds_write_b64 v5, v[24:25]                                  // 000000007008: D89A0000 00001805
	v_mov_b32_e32 v24, v73                                     // 000000007010: 7E300349
	v_mov_b32_e32 v25, v77                                     // 000000007014: 7E32034D
	v_mov_b32_e32 v26, v81                                     // 000000007018: 7E340351
	v_mov_b32_e32 v27, v85                                     // 00000000701C: 7E360355
	v_cmp_u_f32_e64 s[38:39], v24, v24                         // 000000007020: D0480026 00023118
	v_add3_u32 v28, v24, v31, 1                                // 000000007028: D1FF001C 02063F18
	v_cndmask_b32_e64 v20, v28, v30, s[38:39]                  // 000000007030: D1000014 009A3D1C
	v_cmp_u_f32_e64 s[38:39], v25, v25                         // 000000007038: D0480026 00023319
	v_add3_u32 v28, v25, v31, 1                                // 000000007040: D1FF001C 02063F19
	v_cndmask_b32_e64 v21, v28, v30, s[38:39]                  // 000000007048: D1000015 009A3D1C
	v_perm_b32 v24, v21, v20, s52                              // 000000007050: D1ED0018 00D22915
	v_cmp_u_f32_e64 s[38:39], v26, v26                         // 000000007058: D0480026 0002351A
	v_add3_u32 v28, v26, v31, 1                                // 000000007060: D1FF001C 02063F1A
	v_cndmask_b32_e64 v20, v28, v30, s[38:39]                  // 000000007068: D1000014 009A3D1C
	v_cmp_u_f32_e64 s[38:39], v27, v27                         // 000000007070: D0480026 0002371B
	v_add3_u32 v28, v27, v31, 1                                // 000000007078: D1FF001C 02063F1B
	v_cndmask_b32_e64 v21, v28, v30, s[38:39]                  // 000000007080: D1000015 009A3D1C
	v_perm_b32 v25, v21, v20, s52                              // 000000007088: D1ED0019 00D22915
	ds_write_b64 v5, v[24:25] offset:1152                      // 000000007090: D89A0480 00001805
	v_mov_b32_e32 v24, v74                                     // 000000007098: 7E30034A
	v_mov_b32_e32 v25, v78                                     // 00000000709C: 7E32034E
	v_mov_b32_e32 v26, v82                                     // 0000000070A0: 7E340352
	v_mov_b32_e32 v27, v86                                     // 0000000070A4: 7E360356
	v_cmp_u_f32_e64 s[38:39], v24, v24                         // 0000000070A8: D0480026 00023118
	v_add3_u32 v28, v24, v31, 1                                // 0000000070B0: D1FF001C 02063F18
	v_cndmask_b32_e64 v20, v28, v30, s[38:39]                  // 0000000070B8: D1000014 009A3D1C
	v_cmp_u_f32_e64 s[38:39], v25, v25                         // 0000000070C0: D0480026 00023319
	v_add3_u32 v28, v25, v31, 1                                // 0000000070C8: D1FF001C 02063F19
	v_cndmask_b32_e64 v21, v28, v30, s[38:39]                  // 0000000070D0: D1000015 009A3D1C
	v_perm_b32 v24, v21, v20, s52                              // 0000000070D8: D1ED0018 00D22915
	v_cmp_u_f32_e64 s[38:39], v26, v26                         // 0000000070E0: D0480026 0002351A
	v_add3_u32 v28, v26, v31, 1                                // 0000000070E8: D1FF001C 02063F1A
	v_cndmask_b32_e64 v20, v28, v30, s[38:39]                  // 0000000070F0: D1000014 009A3D1C
	v_cmp_u_f32_e64 s[38:39], v27, v27                         // 0000000070F8: D0480026 0002371B
	v_add3_u32 v28, v27, v31, 1                                // 000000007100: D1FF001C 02063F1B
	v_cndmask_b32_e64 v21, v28, v30, s[38:39]                  // 000000007108: D1000015 009A3D1C
	v_perm_b32 v25, v21, v20, s52                              // 000000007110: D1ED0019 00D22915
	ds_write_b64 v5, v[24:25] offset:144                       // 000000007118: D89A0090 00001805
	v_mov_b32_e32 v24, v75                                     // 000000007120: 7E30034B
	v_mov_b32_e32 v25, v79                                     // 000000007124: 7E32034F
	v_mov_b32_e32 v26, v83                                     // 000000007128: 7E340353
	v_mov_b32_e32 v27, v87                                     // 00000000712C: 7E360357
	v_cmp_u_f32_e64 s[38:39], v24, v24                         // 000000007130: D0480026 00023118
	v_add3_u32 v28, v24, v31, 1                                // 000000007138: D1FF001C 02063F18
	v_cndmask_b32_e64 v20, v28, v30, s[38:39]                  // 000000007140: D1000014 009A3D1C
	v_cmp_u_f32_e64 s[38:39], v25, v25                         // 000000007148: D0480026 00023319
	v_add3_u32 v28, v25, v31, 1                                // 000000007150: D1FF001C 02063F19
	v_cndmask_b32_e64 v21, v28, v30, s[38:39]                  // 000000007158: D1000015 009A3D1C
	v_perm_b32 v24, v21, v20, s52                              // 000000007160: D1ED0018 00D22915
	v_cmp_u_f32_e64 s[38:39], v26, v26                         // 000000007168: D0480026 0002351A
	v_add3_u32 v28, v26, v31, 1                                // 000000007170: D1FF001C 02063F1A
	v_cndmask_b32_e64 v20, v28, v30, s[38:39]                  // 000000007178: D1000014 009A3D1C
	v_cmp_u_f32_e64 s[38:39], v27, v27                         // 000000007180: D0480026 0002371B
	v_add3_u32 v28, v27, v31, 1                                // 000000007188: D1FF001C 02063F1B
	v_cndmask_b32_e64 v21, v28, v30, s[38:39]                  // 000000007190: D1000015 009A3D1C
	v_perm_b32 v25, v21, v20, s52                              // 000000007198: D1ED0019 00D22915
	ds_write_b64 v5, v[24:25] offset:1296                      // 0000000071A0: D89A0510 00001805
	v_mov_b32_e32 v24, v88                                     // 0000000071A8: 7E300358
	v_mov_b32_e32 v25, v92                                     // 0000000071AC: 7E32035C
	v_mov_b32_e32 v26, v96                                     // 0000000071B0: 7E340360
	v_mov_b32_e32 v27, v100                                    // 0000000071B4: 7E360364
	v_cmp_u_f32_e64 s[38:39], v24, v24                         // 0000000071B8: D0480026 00023118
	v_add3_u32 v28, v24, v31, 1                                // 0000000071C0: D1FF001C 02063F18
	v_cndmask_b32_e64 v20, v28, v30, s[38:39]                  // 0000000071C8: D1000014 009A3D1C
	v_cmp_u_f32_e64 s[38:39], v25, v25                         // 0000000071D0: D0480026 00023319
	v_add3_u32 v28, v25, v31, 1                                // 0000000071D8: D1FF001C 02063F19
	v_cndmask_b32_e64 v21, v28, v30, s[38:39]                  // 0000000071E0: D1000015 009A3D1C
	v_perm_b32 v24, v21, v20, s52                              // 0000000071E8: D1ED0018 00D22915
	v_cmp_u_f32_e64 s[38:39], v26, v26                         // 0000000071F0: D0480026 0002351A
	v_add3_u32 v28, v26, v31, 1                                // 0000000071F8: D1FF001C 02063F1A
	v_cndmask_b32_e64 v20, v28, v30, s[38:39]                  // 000000007200: D1000014 009A3D1C
	v_cmp_u_f32_e64 s[38:39], v27, v27                         // 000000007208: D0480026 0002371B
	v_add3_u32 v28, v27, v31, 1                                // 000000007210: D1FF001C 02063F1B
	v_cndmask_b32_e64 v21, v28, v30, s[38:39]                  // 000000007218: D1000015 009A3D1C
	v_perm_b32 v25, v21, v20, s52                              // 000000007220: D1ED0019 00D22915
	ds_write_b64 v5, v[24:25] offset:2304                      // 000000007228: D89A0900 00001805
	v_mov_b32_e32 v24, v89                                     // 000000007230: 7E300359
	v_mov_b32_e32 v25, v93                                     // 000000007234: 7E32035D
	v_mov_b32_e32 v26, v97                                     // 000000007238: 7E340361
	v_mov_b32_e32 v27, v101                                    // 00000000723C: 7E360365
	v_cmp_u_f32_e64 s[38:39], v24, v24                         // 000000007240: D0480026 00023118
	v_add3_u32 v28, v24, v31, 1                                // 000000007248: D1FF001C 02063F18
	v_cndmask_b32_e64 v20, v28, v30, s[38:39]                  // 000000007250: D1000014 009A3D1C
	v_cmp_u_f32_e64 s[38:39], v25, v25                         // 000000007258: D0480026 00023319
	v_add3_u32 v28, v25, v31, 1                                // 000000007260: D1FF001C 02063F19
	v_cndmask_b32_e64 v21, v28, v30, s[38:39]                  // 000000007268: D1000015 009A3D1C
	v_perm_b32 v24, v21, v20, s52                              // 000000007270: D1ED0018 00D22915
	v_cmp_u_f32_e64 s[38:39], v26, v26                         // 000000007278: D0480026 0002351A
	v_add3_u32 v28, v26, v31, 1                                // 000000007280: D1FF001C 02063F1A
	v_cndmask_b32_e64 v20, v28, v30, s[38:39]                  // 000000007288: D1000014 009A3D1C
	v_cmp_u_f32_e64 s[38:39], v27, v27                         // 000000007290: D0480026 0002371B
	v_add3_u32 v28, v27, v31, 1                                // 000000007298: D1FF001C 02063F1B
	v_cndmask_b32_e64 v21, v28, v30, s[38:39]                  // 0000000072A0: D1000015 009A3D1C
	v_perm_b32 v25, v21, v20, s52                              // 0000000072A8: D1ED0019 00D22915
	ds_write_b64 v5, v[24:25] offset:3456                      // 0000000072B0: D89A0D80 00001805
	v_mov_b32_e32 v24, v90                                     // 0000000072B8: 7E30035A
	v_mov_b32_e32 v25, v94                                     // 0000000072BC: 7E32035E
	v_mov_b32_e32 v26, v98                                     // 0000000072C0: 7E340362
	v_mov_b32_e32 v27, v102                                    // 0000000072C4: 7E360366
	v_cmp_u_f32_e64 s[38:39], v24, v24                         // 0000000072C8: D0480026 00023118
	v_add3_u32 v28, v24, v31, 1                                // 0000000072D0: D1FF001C 02063F18
	v_cndmask_b32_e64 v20, v28, v30, s[38:39]                  // 0000000072D8: D1000014 009A3D1C
	v_cmp_u_f32_e64 s[38:39], v25, v25                         // 0000000072E0: D0480026 00023319
	v_add3_u32 v28, v25, v31, 1                                // 0000000072E8: D1FF001C 02063F19
	v_cndmask_b32_e64 v21, v28, v30, s[38:39]                  // 0000000072F0: D1000015 009A3D1C
	v_perm_b32 v24, v21, v20, s52                              // 0000000072F8: D1ED0018 00D22915
	v_cmp_u_f32_e64 s[38:39], v26, v26                         // 000000007300: D0480026 0002351A
	v_add3_u32 v28, v26, v31, 1                                // 000000007308: D1FF001C 02063F1A
	v_cndmask_b32_e64 v20, v28, v30, s[38:39]                  // 000000007310: D1000014 009A3D1C
	v_cmp_u_f32_e64 s[38:39], v27, v27                         // 000000007318: D0480026 0002371B
	v_add3_u32 v28, v27, v31, 1                                // 000000007320: D1FF001C 02063F1B
	v_cndmask_b32_e64 v21, v28, v30, s[38:39]                  // 000000007328: D1000015 009A3D1C
	v_perm_b32 v25, v21, v20, s52                              // 000000007330: D1ED0019 00D22915
	ds_write_b64 v5, v[24:25] offset:2448                      // 000000007338: D89A0990 00001805
	v_mov_b32_e32 v24, v91                                     // 000000007340: 7E30035B
	v_mov_b32_e32 v25, v95                                     // 000000007344: 7E32035F
	v_mov_b32_e32 v26, v99                                     // 000000007348: 7E340363
	v_mov_b32_e32 v27, v103                                    // 00000000734C: 7E360367
	v_cmp_u_f32_e64 s[38:39], v24, v24                         // 000000007350: D0480026 00023118
	v_add3_u32 v28, v24, v31, 1                                // 000000007358: D1FF001C 02063F18
	v_cndmask_b32_e64 v20, v28, v30, s[38:39]                  // 000000007360: D1000014 009A3D1C
	v_cmp_u_f32_e64 s[38:39], v25, v25                         // 000000007368: D0480026 00023319
	v_add3_u32 v28, v25, v31, 1                                // 000000007370: D1FF001C 02063F19
	v_cndmask_b32_e64 v21, v28, v30, s[38:39]                  // 000000007378: D1000015 009A3D1C
	v_perm_b32 v24, v21, v20, s52                              // 000000007380: D1ED0018 00D22915
	v_cmp_u_f32_e64 s[38:39], v26, v26                         // 000000007388: D0480026 0002351A
	v_add3_u32 v28, v26, v31, 1                                // 000000007390: D1FF001C 02063F1A
	v_cndmask_b32_e64 v20, v28, v30, s[38:39]                  // 000000007398: D1000014 009A3D1C
	v_cmp_u_f32_e64 s[38:39], v27, v27                         // 0000000073A0: D0480026 0002371B
	v_add3_u32 v28, v27, v31, 1                                // 0000000073A8: D1FF001C 02063F1B
	v_cndmask_b32_e64 v21, v28, v30, s[38:39]                  // 0000000073B0: D1000015 009A3D1C
	v_perm_b32 v25, v21, v20, s52                              // 0000000073B8: D1ED0019 00D22915
	ds_write_b64 v5, v[24:25] offset:3600                      // 0000000073C0: D89A0E10 00001805
	s_waitcnt lgkmcnt(4)                                       // 0000000073C8: BF8CC47F
	ds_read_b64 v[40:41], v4                                   // 0000000073CC: D8EC0000 28000004
	ds_read_b64 v[44:45], v4 offset:64                         // 0000000073D4: D8EC0040 2C000004
	ds_read_b64 v[42:43], v4 offset:1152                       // 0000000073DC: D8EC0480 2A000004
	ds_read_b64 v[46:47], v4 offset:1216                       // 0000000073E4: D8EC04C0 2E000004
	s_waitcnt lgkmcnt(4)                                       // 0000000073EC: BF8CC47F
	ds_read_b64 v[48:49], v4 offset:2304                       // 0000000073F0: D8EC0900 30000004
	ds_read_b64 v[52:53], v4 offset:2368                       // 0000000073F8: D8EC0940 34000004
	ds_read_b64 v[50:51], v4 offset:3456                       // 000000007400: D8EC0D80 32000004
	ds_read_b64 v[54:55], v4 offset:3520                       // 000000007408: D8EC0DC0 36000004
	s_waitcnt lgkmcnt(0)                                       // 000000007410: BF8CC07F
	v_mov_b32_e32 v18, v19                                     // 000000007414: 7E240313
	buffer_store_dwordx4 v[40:43], v18, s[88:91], 0 offen offset:256// 000000007418: E07C1100 80162812
	buffer_store_dwordx4 v[48:51], v18, s[88:91], 0 offen offset:384// 000000007420: E07C1180 80163012
	v_add_u32_e32 v18, 0x2000, v18                             // 000000007428: 682424FF 00002000
	buffer_store_dwordx4 v[44:47], v18, s[88:91], 0 offen offset:256// 000000007430: E07C1100 80162C12
	buffer_store_dwordx4 v[52:55], v18, s[88:91], 0 offen offset:384// 000000007438: E07C1180 80163412
	v_add_u32_e32 v18, 0x2000, v18                             // 000000007440: 682424FF 00002000
	v_mov_b32_e32 v24, v104                                    // 000000007448: 7E300368
	v_mov_b32_e32 v25, v108                                    // 00000000744C: 7E32036C
	v_mov_b32_e32 v26, v112                                    // 000000007450: 7E340370
	v_mov_b32_e32 v27, v116                                    // 000000007454: 7E360374
	v_cmp_u_f32_e64 s[38:39], v24, v24                         // 000000007458: D0480026 00023118
	v_add3_u32 v28, v24, v31, 1                                // 000000007460: D1FF001C 02063F18
	v_cndmask_b32_e64 v20, v28, v30, s[38:39]                  // 000000007468: D1000014 009A3D1C
	v_cmp_u_f32_e64 s[38:39], v25, v25                         // 000000007470: D0480026 00023319
	v_add3_u32 v28, v25, v31, 1                                // 000000007478: D1FF001C 02063F19
	v_cndmask_b32_e64 v21, v28, v30, s[38:39]                  // 000000007480: D1000015 009A3D1C
	v_perm_b32 v24, v21, v20, s52                              // 000000007488: D1ED0018 00D22915
	v_cmp_u_f32_e64 s[38:39], v26, v26                         // 000000007490: D0480026 0002351A
	v_add3_u32 v28, v26, v31, 1                                // 000000007498: D1FF001C 02063F1A
	v_cndmask_b32_e64 v20, v28, v30, s[38:39]                  // 0000000074A0: D1000014 009A3D1C
	v_cmp_u_f32_e64 s[38:39], v27, v27                         // 0000000074A8: D0480026 0002371B
	v_add3_u32 v28, v27, v31, 1                                // 0000000074B0: D1FF001C 02063F1B
	v_cndmask_b32_e64 v21, v28, v30, s[38:39]                  // 0000000074B8: D1000015 009A3D1C
	v_perm_b32 v25, v21, v20, s52                              // 0000000074C0: D1ED0019 00D22915
	ds_write_b64 v5, v[24:25]                                  // 0000000074C8: D89A0000 00001805
	v_mov_b32_e32 v24, v105                                    // 0000000074D0: 7E300369
	v_mov_b32_e32 v25, v109                                    // 0000000074D4: 7E32036D
	v_mov_b32_e32 v26, v113                                    // 0000000074D8: 7E340371
	v_mov_b32_e32 v27, v117                                    // 0000000074DC: 7E360375
	v_cmp_u_f32_e64 s[38:39], v24, v24                         // 0000000074E0: D0480026 00023118
	v_add3_u32 v28, v24, v31, 1                                // 0000000074E8: D1FF001C 02063F18
	v_cndmask_b32_e64 v20, v28, v30, s[38:39]                  // 0000000074F0: D1000014 009A3D1C
	v_cmp_u_f32_e64 s[38:39], v25, v25                         // 0000000074F8: D0480026 00023319
	v_add3_u32 v28, v25, v31, 1                                // 000000007500: D1FF001C 02063F19
	v_cndmask_b32_e64 v21, v28, v30, s[38:39]                  // 000000007508: D1000015 009A3D1C
	v_perm_b32 v24, v21, v20, s52                              // 000000007510: D1ED0018 00D22915
	v_cmp_u_f32_e64 s[38:39], v26, v26                         // 000000007518: D0480026 0002351A
	v_add3_u32 v28, v26, v31, 1                                // 000000007520: D1FF001C 02063F1A
	v_cndmask_b32_e64 v20, v28, v30, s[38:39]                  // 000000007528: D1000014 009A3D1C
	v_cmp_u_f32_e64 s[38:39], v27, v27                         // 000000007530: D0480026 0002371B
	v_add3_u32 v28, v27, v31, 1                                // 000000007538: D1FF001C 02063F1B
	v_cndmask_b32_e64 v21, v28, v30, s[38:39]                  // 000000007540: D1000015 009A3D1C
	v_perm_b32 v25, v21, v20, s52                              // 000000007548: D1ED0019 00D22915
	ds_write_b64 v5, v[24:25] offset:1152                      // 000000007550: D89A0480 00001805
	v_mov_b32_e32 v24, v106                                    // 000000007558: 7E30036A
	v_mov_b32_e32 v25, v110                                    // 00000000755C: 7E32036E
	v_mov_b32_e32 v26, v114                                    // 000000007560: 7E340372
	v_mov_b32_e32 v27, v118                                    // 000000007564: 7E360376
	v_cmp_u_f32_e64 s[38:39], v24, v24                         // 000000007568: D0480026 00023118
	v_add3_u32 v28, v24, v31, 1                                // 000000007570: D1FF001C 02063F18
	v_cndmask_b32_e64 v20, v28, v30, s[38:39]                  // 000000007578: D1000014 009A3D1C
	v_cmp_u_f32_e64 s[38:39], v25, v25                         // 000000007580: D0480026 00023319
	v_add3_u32 v28, v25, v31, 1                                // 000000007588: D1FF001C 02063F19
	v_cndmask_b32_e64 v21, v28, v30, s[38:39]                  // 000000007590: D1000015 009A3D1C
	v_perm_b32 v24, v21, v20, s52                              // 000000007598: D1ED0018 00D22915
	v_cmp_u_f32_e64 s[38:39], v26, v26                         // 0000000075A0: D0480026 0002351A
	v_add3_u32 v28, v26, v31, 1                                // 0000000075A8: D1FF001C 02063F1A
	v_cndmask_b32_e64 v20, v28, v30, s[38:39]                  // 0000000075B0: D1000014 009A3D1C
	v_cmp_u_f32_e64 s[38:39], v27, v27                         // 0000000075B8: D0480026 0002371B
	v_add3_u32 v28, v27, v31, 1                                // 0000000075C0: D1FF001C 02063F1B
	v_cndmask_b32_e64 v21, v28, v30, s[38:39]                  // 0000000075C8: D1000015 009A3D1C
	v_perm_b32 v25, v21, v20, s52                              // 0000000075D0: D1ED0019 00D22915
	ds_write_b64 v5, v[24:25] offset:144                       // 0000000075D8: D89A0090 00001805
	v_mov_b32_e32 v24, v107                                    // 0000000075E0: 7E30036B
	v_mov_b32_e32 v25, v111                                    // 0000000075E4: 7E32036F
	v_mov_b32_e32 v26, v115                                    // 0000000075E8: 7E340373
	v_mov_b32_e32 v27, v119                                    // 0000000075EC: 7E360377
	v_cmp_u_f32_e64 s[38:39], v24, v24                         // 0000000075F0: D0480026 00023118
	v_add3_u32 v28, v24, v31, 1                                // 0000000075F8: D1FF001C 02063F18
	v_cndmask_b32_e64 v20, v28, v30, s[38:39]                  // 000000007600: D1000014 009A3D1C
	v_cmp_u_f32_e64 s[38:39], v25, v25                         // 000000007608: D0480026 00023319
	v_add3_u32 v28, v25, v31, 1                                // 000000007610: D1FF001C 02063F19
	v_cndmask_b32_e64 v21, v28, v30, s[38:39]                  // 000000007618: D1000015 009A3D1C
	v_perm_b32 v24, v21, v20, s52                              // 000000007620: D1ED0018 00D22915
	v_cmp_u_f32_e64 s[38:39], v26, v26                         // 000000007628: D0480026 0002351A
	v_add3_u32 v28, v26, v31, 1                                // 000000007630: D1FF001C 02063F1A
	v_cndmask_b32_e64 v20, v28, v30, s[38:39]                  // 000000007638: D1000014 009A3D1C
	v_cmp_u_f32_e64 s[38:39], v27, v27                         // 000000007640: D0480026 0002371B
	v_add3_u32 v28, v27, v31, 1                                // 000000007648: D1FF001C 02063F1B
	v_cndmask_b32_e64 v21, v28, v30, s[38:39]                  // 000000007650: D1000015 009A3D1C
	v_perm_b32 v25, v21, v20, s52                              // 000000007658: D1ED0019 00D22915
	ds_write_b64 v5, v[24:25] offset:1296                      // 000000007660: D89A0510 00001805
	v_mov_b32_e32 v24, v120                                    // 000000007668: 7E300378
	v_mov_b32_e32 v25, v124                                    // 00000000766C: 7E32037C
	v_mov_b32_e32 v26, v128                                    // 000000007670: 7E340380
	v_mov_b32_e32 v27, v132                                    // 000000007674: 7E360384
	v_cmp_u_f32_e64 s[38:39], v24, v24                         // 000000007678: D0480026 00023118
	v_add3_u32 v28, v24, v31, 1                                // 000000007680: D1FF001C 02063F18
	v_cndmask_b32_e64 v20, v28, v30, s[38:39]                  // 000000007688: D1000014 009A3D1C
	v_cmp_u_f32_e64 s[38:39], v25, v25                         // 000000007690: D0480026 00023319
	v_add3_u32 v28, v25, v31, 1                                // 000000007698: D1FF001C 02063F19
	v_cndmask_b32_e64 v21, v28, v30, s[38:39]                  // 0000000076A0: D1000015 009A3D1C
	v_perm_b32 v24, v21, v20, s52                              // 0000000076A8: D1ED0018 00D22915
	v_cmp_u_f32_e64 s[38:39], v26, v26                         // 0000000076B0: D0480026 0002351A
	v_add3_u32 v28, v26, v31, 1                                // 0000000076B8: D1FF001C 02063F1A
	v_cndmask_b32_e64 v20, v28, v30, s[38:39]                  // 0000000076C0: D1000014 009A3D1C
	v_cmp_u_f32_e64 s[38:39], v27, v27                         // 0000000076C8: D0480026 0002371B
	v_add3_u32 v28, v27, v31, 1                                // 0000000076D0: D1FF001C 02063F1B
	v_cndmask_b32_e64 v21, v28, v30, s[38:39]                  // 0000000076D8: D1000015 009A3D1C
	v_perm_b32 v25, v21, v20, s52                              // 0000000076E0: D1ED0019 00D22915
	ds_write_b64 v5, v[24:25] offset:2304                      // 0000000076E8: D89A0900 00001805
	v_mov_b32_e32 v24, v121                                    // 0000000076F0: 7E300379
	v_mov_b32_e32 v25, v125                                    // 0000000076F4: 7E32037D
	v_mov_b32_e32 v26, v129                                    // 0000000076F8: 7E340381
	v_mov_b32_e32 v27, v133                                    // 0000000076FC: 7E360385
	v_cmp_u_f32_e64 s[38:39], v24, v24                         // 000000007700: D0480026 00023118
	v_add3_u32 v28, v24, v31, 1                                // 000000007708: D1FF001C 02063F18
	v_cndmask_b32_e64 v20, v28, v30, s[38:39]                  // 000000007710: D1000014 009A3D1C
	v_cmp_u_f32_e64 s[38:39], v25, v25                         // 000000007718: D0480026 00023319
	v_add3_u32 v28, v25, v31, 1                                // 000000007720: D1FF001C 02063F19
	v_cndmask_b32_e64 v21, v28, v30, s[38:39]                  // 000000007728: D1000015 009A3D1C
	v_perm_b32 v24, v21, v20, s52                              // 000000007730: D1ED0018 00D22915
	v_cmp_u_f32_e64 s[38:39], v26, v26                         // 000000007738: D0480026 0002351A
	v_add3_u32 v28, v26, v31, 1                                // 000000007740: D1FF001C 02063F1A
	v_cndmask_b32_e64 v20, v28, v30, s[38:39]                  // 000000007748: D1000014 009A3D1C
	v_cmp_u_f32_e64 s[38:39], v27, v27                         // 000000007750: D0480026 0002371B
	v_add3_u32 v28, v27, v31, 1                                // 000000007758: D1FF001C 02063F1B
	v_cndmask_b32_e64 v21, v28, v30, s[38:39]                  // 000000007760: D1000015 009A3D1C
	v_perm_b32 v25, v21, v20, s52                              // 000000007768: D1ED0019 00D22915
	ds_write_b64 v5, v[24:25] offset:3456                      // 000000007770: D89A0D80 00001805
	v_mov_b32_e32 v24, v122                                    // 000000007778: 7E30037A
	v_mov_b32_e32 v25, v126                                    // 00000000777C: 7E32037E
	v_mov_b32_e32 v26, v130                                    // 000000007780: 7E340382
	v_mov_b32_e32 v27, v134                                    // 000000007784: 7E360386
	v_cmp_u_f32_e64 s[38:39], v24, v24                         // 000000007788: D0480026 00023118
	v_add3_u32 v28, v24, v31, 1                                // 000000007790: D1FF001C 02063F18
	v_cndmask_b32_e64 v20, v28, v30, s[38:39]                  // 000000007798: D1000014 009A3D1C
	v_cmp_u_f32_e64 s[38:39], v25, v25                         // 0000000077A0: D0480026 00023319
	v_add3_u32 v28, v25, v31, 1                                // 0000000077A8: D1FF001C 02063F19
	v_cndmask_b32_e64 v21, v28, v30, s[38:39]                  // 0000000077B0: D1000015 009A3D1C
	v_perm_b32 v24, v21, v20, s52                              // 0000000077B8: D1ED0018 00D22915
	v_cmp_u_f32_e64 s[38:39], v26, v26                         // 0000000077C0: D0480026 0002351A
	v_add3_u32 v28, v26, v31, 1                                // 0000000077C8: D1FF001C 02063F1A
	v_cndmask_b32_e64 v20, v28, v30, s[38:39]                  // 0000000077D0: D1000014 009A3D1C
	v_cmp_u_f32_e64 s[38:39], v27, v27                         // 0000000077D8: D0480026 0002371B
	v_add3_u32 v28, v27, v31, 1                                // 0000000077E0: D1FF001C 02063F1B
	v_cndmask_b32_e64 v21, v28, v30, s[38:39]                  // 0000000077E8: D1000015 009A3D1C
	v_perm_b32 v25, v21, v20, s52                              // 0000000077F0: D1ED0019 00D22915
	ds_write_b64 v5, v[24:25] offset:2448                      // 0000000077F8: D89A0990 00001805
	v_mov_b32_e32 v24, v123                                    // 000000007800: 7E30037B
	v_mov_b32_e32 v25, v127                                    // 000000007804: 7E32037F
	v_mov_b32_e32 v26, v131                                    // 000000007808: 7E340383
	v_mov_b32_e32 v27, v135                                    // 00000000780C: 7E360387
	v_cmp_u_f32_e64 s[38:39], v24, v24                         // 000000007810: D0480026 00023118
	v_add3_u32 v28, v24, v31, 1                                // 000000007818: D1FF001C 02063F18
	v_cndmask_b32_e64 v20, v28, v30, s[38:39]                  // 000000007820: D1000014 009A3D1C
	v_cmp_u_f32_e64 s[38:39], v25, v25                         // 000000007828: D0480026 00023319
	v_add3_u32 v28, v25, v31, 1                                // 000000007830: D1FF001C 02063F19
	v_cndmask_b32_e64 v21, v28, v30, s[38:39]                  // 000000007838: D1000015 009A3D1C
	v_perm_b32 v24, v21, v20, s52                              // 000000007840: D1ED0018 00D22915
	v_cmp_u_f32_e64 s[38:39], v26, v26                         // 000000007848: D0480026 0002351A
	v_add3_u32 v28, v26, v31, 1                                // 000000007850: D1FF001C 02063F1A
	v_cndmask_b32_e64 v20, v28, v30, s[38:39]                  // 000000007858: D1000014 009A3D1C
	v_cmp_u_f32_e64 s[38:39], v27, v27                         // 000000007860: D0480026 0002371B
	v_add3_u32 v28, v27, v31, 1                                // 000000007868: D1FF001C 02063F1B
	v_cndmask_b32_e64 v21, v28, v30, s[38:39]                  // 000000007870: D1000015 009A3D1C
	v_perm_b32 v25, v21, v20, s52                              // 000000007878: D1ED0019 00D22915
	ds_write_b64 v5, v[24:25] offset:3600                      // 000000007880: D89A0E10 00001805
	s_waitcnt lgkmcnt(4)                                       // 000000007888: BF8CC47F
	ds_read_b64 v[40:41], v4                                   // 00000000788C: D8EC0000 28000004
	ds_read_b64 v[44:45], v4 offset:64                         // 000000007894: D8EC0040 2C000004
	ds_read_b64 v[42:43], v4 offset:1152                       // 00000000789C: D8EC0480 2A000004
	ds_read_b64 v[46:47], v4 offset:1216                       // 0000000078A4: D8EC04C0 2E000004
	s_waitcnt lgkmcnt(4)                                       // 0000000078AC: BF8CC47F
	ds_read_b64 v[48:49], v4 offset:2304                       // 0000000078B0: D8EC0900 30000004
	ds_read_b64 v[52:53], v4 offset:2368                       // 0000000078B8: D8EC0940 34000004
	ds_read_b64 v[50:51], v4 offset:3456                       // 0000000078C0: D8EC0D80 32000004
	ds_read_b64 v[54:55], v4 offset:3520                       // 0000000078C8: D8EC0DC0 36000004
	s_waitcnt lgkmcnt(0)                                       // 0000000078D0: BF8CC07F
	v_mov_b32_e32 v18, v19                                     // 0000000078D4: 7E240313
	buffer_store_dwordx4 v[40:43], v18, s[88:91], 0 offen offset:512// 0000000078D8: E07C1200 80162812
	buffer_store_dwordx4 v[48:51], v18, s[88:91], 0 offen offset:640// 0000000078E0: E07C1280 80163012
	v_add_u32_e32 v18, 0x2000, v18                             // 0000000078E8: 682424FF 00002000
	buffer_store_dwordx4 v[44:47], v18, s[88:91], 0 offen offset:512// 0000000078F0: E07C1200 80162C12
	buffer_store_dwordx4 v[52:55], v18, s[88:91], 0 offen offset:640// 0000000078F8: E07C1280 80163412
	v_add_u32_e32 v18, 0x2000, v18                             // 000000007900: 682424FF 00002000
	v_mov_b32_e32 v24, v136                                    // 000000007908: 7E300388
	v_mov_b32_e32 v25, v140                                    // 00000000790C: 7E32038C
	v_mov_b32_e32 v26, v144                                    // 000000007910: 7E340390
	v_mov_b32_e32 v27, v148                                    // 000000007914: 7E360394
	v_cmp_u_f32_e64 s[38:39], v24, v24                         // 000000007918: D0480026 00023118
	v_add3_u32 v28, v24, v31, 1                                // 000000007920: D1FF001C 02063F18
	v_cndmask_b32_e64 v20, v28, v30, s[38:39]                  // 000000007928: D1000014 009A3D1C
	v_cmp_u_f32_e64 s[38:39], v25, v25                         // 000000007930: D0480026 00023319
	v_add3_u32 v28, v25, v31, 1                                // 000000007938: D1FF001C 02063F19
	v_cndmask_b32_e64 v21, v28, v30, s[38:39]                  // 000000007940: D1000015 009A3D1C
	v_perm_b32 v24, v21, v20, s52                              // 000000007948: D1ED0018 00D22915
	v_cmp_u_f32_e64 s[38:39], v26, v26                         // 000000007950: D0480026 0002351A
	v_add3_u32 v28, v26, v31, 1                                // 000000007958: D1FF001C 02063F1A
	v_cndmask_b32_e64 v20, v28, v30, s[38:39]                  // 000000007960: D1000014 009A3D1C
	v_cmp_u_f32_e64 s[38:39], v27, v27                         // 000000007968: D0480026 0002371B
	v_add3_u32 v28, v27, v31, 1                                // 000000007970: D1FF001C 02063F1B
	v_cndmask_b32_e64 v21, v28, v30, s[38:39]                  // 000000007978: D1000015 009A3D1C
	v_perm_b32 v25, v21, v20, s52                              // 000000007980: D1ED0019 00D22915
	ds_write_b64 v5, v[24:25]                                  // 000000007988: D89A0000 00001805
	v_mov_b32_e32 v24, v137                                    // 000000007990: 7E300389
	v_mov_b32_e32 v25, v141                                    // 000000007994: 7E32038D
	v_mov_b32_e32 v26, v145                                    // 000000007998: 7E340391
	v_mov_b32_e32 v27, v149                                    // 00000000799C: 7E360395
	v_cmp_u_f32_e64 s[38:39], v24, v24                         // 0000000079A0: D0480026 00023118
	v_add3_u32 v28, v24, v31, 1                                // 0000000079A8: D1FF001C 02063F18
	v_cndmask_b32_e64 v20, v28, v30, s[38:39]                  // 0000000079B0: D1000014 009A3D1C
	v_cmp_u_f32_e64 s[38:39], v25, v25                         // 0000000079B8: D0480026 00023319
	v_add3_u32 v28, v25, v31, 1                                // 0000000079C0: D1FF001C 02063F19
	v_cndmask_b32_e64 v21, v28, v30, s[38:39]                  // 0000000079C8: D1000015 009A3D1C
	v_perm_b32 v24, v21, v20, s52                              // 0000000079D0: D1ED0018 00D22915
	v_cmp_u_f32_e64 s[38:39], v26, v26                         // 0000000079D8: D0480026 0002351A
	v_add3_u32 v28, v26, v31, 1                                // 0000000079E0: D1FF001C 02063F1A
	v_cndmask_b32_e64 v20, v28, v30, s[38:39]                  // 0000000079E8: D1000014 009A3D1C
	v_cmp_u_f32_e64 s[38:39], v27, v27                         // 0000000079F0: D0480026 0002371B
	v_add3_u32 v28, v27, v31, 1                                // 0000000079F8: D1FF001C 02063F1B
	v_cndmask_b32_e64 v21, v28, v30, s[38:39]                  // 000000007A00: D1000015 009A3D1C
	v_perm_b32 v25, v21, v20, s52                              // 000000007A08: D1ED0019 00D22915
	ds_write_b64 v5, v[24:25] offset:1152                      // 000000007A10: D89A0480 00001805
	v_mov_b32_e32 v24, v138                                    // 000000007A18: 7E30038A
	v_mov_b32_e32 v25, v142                                    // 000000007A1C: 7E32038E
	v_mov_b32_e32 v26, v146                                    // 000000007A20: 7E340392
	v_mov_b32_e32 v27, v150                                    // 000000007A24: 7E360396
	v_cmp_u_f32_e64 s[38:39], v24, v24                         // 000000007A28: D0480026 00023118
	v_add3_u32 v28, v24, v31, 1                                // 000000007A30: D1FF001C 02063F18
	v_cndmask_b32_e64 v20, v28, v30, s[38:39]                  // 000000007A38: D1000014 009A3D1C
	v_cmp_u_f32_e64 s[38:39], v25, v25                         // 000000007A40: D0480026 00023319
	v_add3_u32 v28, v25, v31, 1                                // 000000007A48: D1FF001C 02063F19
	v_cndmask_b32_e64 v21, v28, v30, s[38:39]                  // 000000007A50: D1000015 009A3D1C
	v_perm_b32 v24, v21, v20, s52                              // 000000007A58: D1ED0018 00D22915
	v_cmp_u_f32_e64 s[38:39], v26, v26                         // 000000007A60: D0480026 0002351A
	v_add3_u32 v28, v26, v31, 1                                // 000000007A68: D1FF001C 02063F1A
	v_cndmask_b32_e64 v20, v28, v30, s[38:39]                  // 000000007A70: D1000014 009A3D1C
	v_cmp_u_f32_e64 s[38:39], v27, v27                         // 000000007A78: D0480026 0002371B
	v_add3_u32 v28, v27, v31, 1                                // 000000007A80: D1FF001C 02063F1B
	v_cndmask_b32_e64 v21, v28, v30, s[38:39]                  // 000000007A88: D1000015 009A3D1C
	v_perm_b32 v25, v21, v20, s52                              // 000000007A90: D1ED0019 00D22915
	ds_write_b64 v5, v[24:25] offset:144                       // 000000007A98: D89A0090 00001805
	v_mov_b32_e32 v24, v139                                    // 000000007AA0: 7E30038B
	v_mov_b32_e32 v25, v143                                    // 000000007AA4: 7E32038F
	v_mov_b32_e32 v26, v147                                    // 000000007AA8: 7E340393
	v_mov_b32_e32 v27, v151                                    // 000000007AAC: 7E360397
	v_cmp_u_f32_e64 s[38:39], v24, v24                         // 000000007AB0: D0480026 00023118
	v_add3_u32 v28, v24, v31, 1                                // 000000007AB8: D1FF001C 02063F18
	v_cndmask_b32_e64 v20, v28, v30, s[38:39]                  // 000000007AC0: D1000014 009A3D1C
	v_cmp_u_f32_e64 s[38:39], v25, v25                         // 000000007AC8: D0480026 00023319
	v_add3_u32 v28, v25, v31, 1                                // 000000007AD0: D1FF001C 02063F19
	v_cndmask_b32_e64 v21, v28, v30, s[38:39]                  // 000000007AD8: D1000015 009A3D1C
	v_perm_b32 v24, v21, v20, s52                              // 000000007AE0: D1ED0018 00D22915
	v_cmp_u_f32_e64 s[38:39], v26, v26                         // 000000007AE8: D0480026 0002351A
	v_add3_u32 v28, v26, v31, 1                                // 000000007AF0: D1FF001C 02063F1A
	v_cndmask_b32_e64 v20, v28, v30, s[38:39]                  // 000000007AF8: D1000014 009A3D1C
	v_cmp_u_f32_e64 s[38:39], v27, v27                         // 000000007B00: D0480026 0002371B
	v_add3_u32 v28, v27, v31, 1                                // 000000007B08: D1FF001C 02063F1B
	v_cndmask_b32_e64 v21, v28, v30, s[38:39]                  // 000000007B10: D1000015 009A3D1C
	v_perm_b32 v25, v21, v20, s52                              // 000000007B18: D1ED0019 00D22915
	ds_write_b64 v5, v[24:25] offset:1296                      // 000000007B20: D89A0510 00001805
	v_mov_b32_e32 v24, v152                                    // 000000007B28: 7E300398
	v_mov_b32_e32 v25, v156                                    // 000000007B2C: 7E32039C
	v_mov_b32_e32 v26, v160                                    // 000000007B30: 7E3403A0
	v_mov_b32_e32 v27, v164                                    // 000000007B34: 7E3603A4
	v_cmp_u_f32_e64 s[38:39], v24, v24                         // 000000007B38: D0480026 00023118
	v_add3_u32 v28, v24, v31, 1                                // 000000007B40: D1FF001C 02063F18
	v_cndmask_b32_e64 v20, v28, v30, s[38:39]                  // 000000007B48: D1000014 009A3D1C
	v_cmp_u_f32_e64 s[38:39], v25, v25                         // 000000007B50: D0480026 00023319
	v_add3_u32 v28, v25, v31, 1                                // 000000007B58: D1FF001C 02063F19
	v_cndmask_b32_e64 v21, v28, v30, s[38:39]                  // 000000007B60: D1000015 009A3D1C
	v_perm_b32 v24, v21, v20, s52                              // 000000007B68: D1ED0018 00D22915
	v_cmp_u_f32_e64 s[38:39], v26, v26                         // 000000007B70: D0480026 0002351A
	v_add3_u32 v28, v26, v31, 1                                // 000000007B78: D1FF001C 02063F1A
	v_cndmask_b32_e64 v20, v28, v30, s[38:39]                  // 000000007B80: D1000014 009A3D1C
	v_cmp_u_f32_e64 s[38:39], v27, v27                         // 000000007B88: D0480026 0002371B
	v_add3_u32 v28, v27, v31, 1                                // 000000007B90: D1FF001C 02063F1B
	v_cndmask_b32_e64 v21, v28, v30, s[38:39]                  // 000000007B98: D1000015 009A3D1C
	v_perm_b32 v25, v21, v20, s52                              // 000000007BA0: D1ED0019 00D22915
	ds_write_b64 v5, v[24:25] offset:2304                      // 000000007BA8: D89A0900 00001805
	v_mov_b32_e32 v24, v153                                    // 000000007BB0: 7E300399
	v_mov_b32_e32 v25, v157                                    // 000000007BB4: 7E32039D
	v_mov_b32_e32 v26, v161                                    // 000000007BB8: 7E3403A1
	v_mov_b32_e32 v27, v165                                    // 000000007BBC: 7E3603A5
	v_cmp_u_f32_e64 s[38:39], v24, v24                         // 000000007BC0: D0480026 00023118
	v_add3_u32 v28, v24, v31, 1                                // 000000007BC8: D1FF001C 02063F18
	v_cndmask_b32_e64 v20, v28, v30, s[38:39]                  // 000000007BD0: D1000014 009A3D1C
	v_cmp_u_f32_e64 s[38:39], v25, v25                         // 000000007BD8: D0480026 00023319
	v_add3_u32 v28, v25, v31, 1                                // 000000007BE0: D1FF001C 02063F19
	v_cndmask_b32_e64 v21, v28, v30, s[38:39]                  // 000000007BE8: D1000015 009A3D1C
	v_perm_b32 v24, v21, v20, s52                              // 000000007BF0: D1ED0018 00D22915
	v_cmp_u_f32_e64 s[38:39], v26, v26                         // 000000007BF8: D0480026 0002351A
	v_add3_u32 v28, v26, v31, 1                                // 000000007C00: D1FF001C 02063F1A
	v_cndmask_b32_e64 v20, v28, v30, s[38:39]                  // 000000007C08: D1000014 009A3D1C
	v_cmp_u_f32_e64 s[38:39], v27, v27                         // 000000007C10: D0480026 0002371B
	v_add3_u32 v28, v27, v31, 1                                // 000000007C18: D1FF001C 02063F1B
	v_cndmask_b32_e64 v21, v28, v30, s[38:39]                  // 000000007C20: D1000015 009A3D1C
	v_perm_b32 v25, v21, v20, s52                              // 000000007C28: D1ED0019 00D22915
	ds_write_b64 v5, v[24:25] offset:3456                      // 000000007C30: D89A0D80 00001805
	v_mov_b32_e32 v24, v154                                    // 000000007C38: 7E30039A
	v_mov_b32_e32 v25, v158                                    // 000000007C3C: 7E32039E
	v_mov_b32_e32 v26, v162                                    // 000000007C40: 7E3403A2
	v_mov_b32_e32 v27, v166                                    // 000000007C44: 7E3603A6
	v_cmp_u_f32_e64 s[38:39], v24, v24                         // 000000007C48: D0480026 00023118
	v_add3_u32 v28, v24, v31, 1                                // 000000007C50: D1FF001C 02063F18
	v_cndmask_b32_e64 v20, v28, v30, s[38:39]                  // 000000007C58: D1000014 009A3D1C
	v_cmp_u_f32_e64 s[38:39], v25, v25                         // 000000007C60: D0480026 00023319
	v_add3_u32 v28, v25, v31, 1                                // 000000007C68: D1FF001C 02063F19
	v_cndmask_b32_e64 v21, v28, v30, s[38:39]                  // 000000007C70: D1000015 009A3D1C
	v_perm_b32 v24, v21, v20, s52                              // 000000007C78: D1ED0018 00D22915
	v_cmp_u_f32_e64 s[38:39], v26, v26                         // 000000007C80: D0480026 0002351A
	v_add3_u32 v28, v26, v31, 1                                // 000000007C88: D1FF001C 02063F1A
	v_cndmask_b32_e64 v20, v28, v30, s[38:39]                  // 000000007C90: D1000014 009A3D1C
	v_cmp_u_f32_e64 s[38:39], v27, v27                         // 000000007C98: D0480026 0002371B
	v_add3_u32 v28, v27, v31, 1                                // 000000007CA0: D1FF001C 02063F1B
	v_cndmask_b32_e64 v21, v28, v30, s[38:39]                  // 000000007CA8: D1000015 009A3D1C
	v_perm_b32 v25, v21, v20, s52                              // 000000007CB0: D1ED0019 00D22915
	ds_write_b64 v5, v[24:25] offset:2448                      // 000000007CB8: D89A0990 00001805
	v_mov_b32_e32 v24, v155                                    // 000000007CC0: 7E30039B
	v_mov_b32_e32 v25, v159                                    // 000000007CC4: 7E32039F
	v_mov_b32_e32 v26, v163                                    // 000000007CC8: 7E3403A3
	v_mov_b32_e32 v27, v167                                    // 000000007CCC: 7E3603A7
	v_cmp_u_f32_e64 s[38:39], v24, v24                         // 000000007CD0: D0480026 00023118
	v_add3_u32 v28, v24, v31, 1                                // 000000007CD8: D1FF001C 02063F18
	v_cndmask_b32_e64 v20, v28, v30, s[38:39]                  // 000000007CE0: D1000014 009A3D1C
	v_cmp_u_f32_e64 s[38:39], v25, v25                         // 000000007CE8: D0480026 00023319
	v_add3_u32 v28, v25, v31, 1                                // 000000007CF0: D1FF001C 02063F19
	v_cndmask_b32_e64 v21, v28, v30, s[38:39]                  // 000000007CF8: D1000015 009A3D1C
	v_perm_b32 v24, v21, v20, s52                              // 000000007D00: D1ED0018 00D22915
	v_cmp_u_f32_e64 s[38:39], v26, v26                         // 000000007D08: D0480026 0002351A
	v_add3_u32 v28, v26, v31, 1                                // 000000007D10: D1FF001C 02063F1A
	v_cndmask_b32_e64 v20, v28, v30, s[38:39]                  // 000000007D18: D1000014 009A3D1C
	v_cmp_u_f32_e64 s[38:39], v27, v27                         // 000000007D20: D0480026 0002371B
	v_add3_u32 v28, v27, v31, 1                                // 000000007D28: D1FF001C 02063F1B
	v_cndmask_b32_e64 v21, v28, v30, s[38:39]                  // 000000007D30: D1000015 009A3D1C
	v_perm_b32 v25, v21, v20, s52                              // 000000007D38: D1ED0019 00D22915
	ds_write_b64 v5, v[24:25] offset:3600                      // 000000007D40: D89A0E10 00001805
	s_waitcnt lgkmcnt(4)                                       // 000000007D48: BF8CC47F
	ds_read_b64 v[40:41], v4                                   // 000000007D4C: D8EC0000 28000004
	ds_read_b64 v[44:45], v4 offset:64                         // 000000007D54: D8EC0040 2C000004
	ds_read_b64 v[42:43], v4 offset:1152                       // 000000007D5C: D8EC0480 2A000004
	ds_read_b64 v[46:47], v4 offset:1216                       // 000000007D64: D8EC04C0 2E000004
	s_waitcnt lgkmcnt(4)                                       // 000000007D6C: BF8CC47F
	ds_read_b64 v[48:49], v4 offset:2304                       // 000000007D70: D8EC0900 30000004
	ds_read_b64 v[52:53], v4 offset:2368                       // 000000007D78: D8EC0940 34000004
	ds_read_b64 v[50:51], v4 offset:3456                       // 000000007D80: D8EC0D80 32000004
	ds_read_b64 v[54:55], v4 offset:3520                       // 000000007D88: D8EC0DC0 36000004
	s_waitcnt lgkmcnt(0)                                       // 000000007D90: BF8CC07F
	v_mov_b32_e32 v18, v19                                     // 000000007D94: 7E240313
	buffer_store_dwordx4 v[40:43], v18, s[88:91], 0 offen offset:768// 000000007D98: E07C1300 80162812
	buffer_store_dwordx4 v[48:51], v18, s[88:91], 0 offen offset:896// 000000007DA0: E07C1380 80163012
	v_add_u32_e32 v18, 0x2000, v18                             // 000000007DA8: 682424FF 00002000
	buffer_store_dwordx4 v[44:47], v18, s[88:91], 0 offen offset:768// 000000007DB0: E07C1300 80162C12
	buffer_store_dwordx4 v[52:55], v18, s[88:91], 0 offen offset:896// 000000007DB8: E07C1380 80163412
	v_add_u32_e32 v18, 0x2000, v18                             // 000000007DC0: 682424FF 00002000
	s_branch label_1870                                        // 000000007DC8: BF8201BD

0000000000007dcc <label_16B3>:
	s_mul_i32 s76, s67, s75                                    // 000000007DCC: 924C4B43
	s_add_u32 s56, s80, s79                                    // 000000007DD0: 80384F50
	v_mov_b32_e32 v20, s56                                     // 000000007DD4: 7E280238
	v_mul_lo_u32 v21, s76, v20                                 // 000000007DD8: D2850015 0002284C
	v_mul_hi_u32 v22, s76, v20                                 // 000000007DE0: D2860016 0002284C
	s_nop 2                                                    // 000000007DE8: BF800002
	v_readfirstlane_b32 s56, v21                               // 000000007DEC: 7E700515
	v_readfirstlane_b32 s57, v22                               // 000000007DF0: 7E720516
	s_nop 4                                                    // 000000007DF4: BF800004
	s_add_u32 s8, s56, s8                                      // 000000007DF8: 80080838
	s_addc_u32 s9, s57, s9                                     // 000000007DFC: 82090939
	s_sub_u32 s56, s81, s80                                    // 000000007E00: 80B85051
	s_mul_i32 s56, s56, s76                                    // 000000007E04: 92384C38
	s_mov_b32 s10, s56                                         // 000000007E08: BE8A0038
	v_and_b32_e32 v20, 15, v0                                  // 000000007E0C: 2628008F
	v_lshlrev_b32_e32 v18, 4, v20                              // 000000007E10: 24242884
	v_lshrrev_b32_e32 v20, 4, v0                               // 000000007E14: 20280084
	v_mul_i32_i24_e32 v20, 0x800, v20                          // 000000007E18: 0C2828FF 00000800
	v_add_u32_e32 v18, v18, v20                                // 000000007E20: 68242912
	s_mul_i32 s56, s4, s75                                     // 000000007E24: 92384B04
	v_add_u32_e64 v18, v18, s56                                // 000000007E28: D1340012 00007112
	s_mul_i32 s56, s7, 0x8000                                  // 000000007E30: 9238FF07 00008000
	v_add_u32_e64 v18, v18, s56                                // 000000007E38: D1340012 00007112
	v_mov_b32_e32 v19, v18                                     // 000000007E40: 7E260312
	s_mul_i32 s58, 4, s65                                      // 000000007E44: 923A4184
	s_mul_i32 s77, s67, s58                                    // 000000007E48: 924D3A43
	s_add_u32 s56, s80, s79                                    // 000000007E4C: 80384F50
	s_mul_i32 s56, s56, s77                                    // 000000007E50: 92384D38
	s_add_u32 s12, s56, s12                                    // 000000007E54: 800C0C38
	s_addc_u32 s13, 0, s13                                     // 000000007E58: 820D0D80
	s_sub_u32 s56, s81, s80                                    // 000000007E5C: 80B85051
	s_mul_i32 s56, s56, s77                                    // 000000007E60: 92384D38
	s_mov_b32 s14, s56                                         // 000000007E64: BE8E0038
	v_and_b32_e32 v26, 15, v0                                  // 000000007E68: 2634008F
	v_lshlrev_b32_e32 v26, 2, v26                              // 000000007E6C: 24343482
	s_mul_i32 s56, s4, s58                                     // 000000007E70: 92383A04
	v_add_u32_e64 v26, v26, s56                                // 000000007E74: D134001A 0000711A
	s_mul_i32 s56, s7, 64                                      // 000000007E7C: 9238C007
	v_add_u32_e64 v26, v26, s56                                // 000000007E80: D134001A 0000711A
	s_waitcnt vmcnt(0) lgkmcnt(0)                              // 000000007E88: BF8C0070
	s_barrier                                                  // 000000007E8C: BF8A0000
	v_lshlrev_b32_e32 v5, 2, v0                                // 000000007E90: 240A0082
	s_mul_i32 s56, s7, 0x840                                   // 000000007E94: 9238FF07 00000840
	v_add_u32_e32 v5, s56, v5                                  // 000000007E9C: 680A0A38
	v_lshlrev_b32_e32 v5, 2, v5                                // 000000007EA0: 240A0A82
	v_lshrrev_b32_e32 v20, 4, v0                               // 000000007EA4: 20280084
	v_mul_i32_i24_e32 v4, 4, v20                               // 000000007EA8: 0C082884
	v_and_b32_e32 v20, 3, v0                                   // 000000007EAC: 26280083
	v_mul_i32_i24_e32 v20, 0x108, v20                          // 000000007EB0: 0C2828FF 00000108
	v_add_u32_e32 v4, v20, v4                                  // 000000007EB8: 68080914
	v_and_b32_e32 v20, 15, v0                                  // 000000007EBC: 2628008F
	v_lshrrev_b32_e32 v20, 2, v20                              // 000000007EC0: 20282882
	v_mul_i32_i24_e32 v20, 64, v20                             // 000000007EC4: 0C2828C0
	v_add_u32_e32 v4, v20, v4                                  // 000000007EC8: 68080914
	s_mul_i32 s56, s7, 0x840                                   // 000000007ECC: 9238FF07 00000840
	v_add_u32_e32 v4, s56, v4                                  // 000000007ED4: 68080838
	v_lshlrev_b32_e32 v4, 2, v4                                // 000000007ED8: 24080882
	s_mov_b32 s56, 0                                           // 000000007EDC: BEB80080
	v_add_u32_e64 v19, v19, s56                                // 000000007EE0: D1340013 00007113
	v_mov_b32_e32 v20, v40                                     // 000000007EE8: 7E280328
	v_mov_b32_e32 v21, v44                                     // 000000007EEC: 7E2A032C
	v_mov_b32_e32 v22, v48                                     // 000000007EF0: 7E2C0330
	v_mov_b32_e32 v23, v52                                     // 000000007EF4: 7E2E0334
	ds_write_b128 v5, v[20:23]                                 // 000000007EF8: D9BE0000 00001405
	v_mov_b32_e32 v20, v41                                     // 000000007F00: 7E280329
	v_mov_b32_e32 v21, v45                                     // 000000007F04: 7E2A032D
	v_mov_b32_e32 v22, v49                                     // 000000007F08: 7E2C0331
	v_mov_b32_e32 v23, v53                                     // 000000007F0C: 7E2E0335
	ds_write_b128 v5, v[20:23] offset:1056                     // 000000007F10: D9BE0420 00001405
	v_mov_b32_e32 v20, v42                                     // 000000007F18: 7E28032A
	v_mov_b32_e32 v21, v46                                     // 000000007F1C: 7E2A032E
	v_mov_b32_e32 v22, v50                                     // 000000007F20: 7E2C0332
	v_mov_b32_e32 v23, v54                                     // 000000007F24: 7E2E0336
	ds_write_b128 v5, v[20:23] offset:2112                     // 000000007F28: D9BE0840 00001405
	v_mov_b32_e32 v20, v43                                     // 000000007F30: 7E28032B
	v_mov_b32_e32 v21, v47                                     // 000000007F34: 7E2A032F
	v_mov_b32_e32 v22, v51                                     // 000000007F38: 7E2C0333
	v_mov_b32_e32 v23, v55                                     // 000000007F3C: 7E2E0337
	ds_write_b128 v5, v[20:23] offset:3168                     // 000000007F40: D9BE0C60 00001405
	v_mov_b32_e32 v20, v56                                     // 000000007F48: 7E280338
	v_mov_b32_e32 v21, v60                                     // 000000007F4C: 7E2A033C
	v_mov_b32_e32 v22, v64                                     // 000000007F50: 7E2C0340
	v_mov_b32_e32 v23, v68                                     // 000000007F54: 7E2E0344
	ds_write_b128 v5, v[20:23] offset:4224                     // 000000007F58: D9BE1080 00001405
	v_mov_b32_e32 v20, v57                                     // 000000007F60: 7E280339
	v_mov_b32_e32 v21, v61                                     // 000000007F64: 7E2A033D
	v_mov_b32_e32 v22, v65                                     // 000000007F68: 7E2C0341
	v_mov_b32_e32 v23, v69                                     // 000000007F6C: 7E2E0345
	ds_write_b128 v5, v[20:23] offset:5280                     // 000000007F70: D9BE14A0 00001405
	v_mov_b32_e32 v20, v58                                     // 000000007F78: 7E28033A
	v_mov_b32_e32 v21, v62                                     // 000000007F7C: 7E2A033E
	v_mov_b32_e32 v22, v66                                     // 000000007F80: 7E2C0342
	v_mov_b32_e32 v23, v70                                     // 000000007F84: 7E2E0346
	ds_write_b128 v5, v[20:23] offset:6336                     // 000000007F88: D9BE18C0 00001405
	v_mov_b32_e32 v20, v59                                     // 000000007F90: 7E28033B
	v_mov_b32_e32 v21, v63                                     // 000000007F94: 7E2A033F
	v_mov_b32_e32 v22, v67                                     // 000000007F98: 7E2C0343
	v_mov_b32_e32 v23, v71                                     // 000000007F9C: 7E2E0347
	ds_write_b128 v5, v[20:23] offset:7392                     // 000000007FA0: D9BE1CE0 00001405
	s_waitcnt lgkmcnt(4)                                       // 000000007FA8: BF8CC47F
	ds_read_b128 v[40:43], v4                                  // 000000007FAC: D9FE0000 28000004
	ds_read_b128 v[44:47], v4 offset:64                        // 000000007FB4: D9FE0040 2C000004
	ds_read_b128 v[48:51], v4 offset:128                       // 000000007FBC: D9FE0080 30000004
	ds_read_b128 v[52:55], v4 offset:192                       // 000000007FC4: D9FE00C0 34000004
	s_waitcnt lgkmcnt(4)                                       // 000000007FCC: BF8CC47F
	ds_read_b128 v[56:59], v4 offset:4224                      // 000000007FD0: D9FE1080 38000004
	ds_read_b128 v[60:63], v4 offset:4288                      // 000000007FD8: D9FE10C0 3C000004
	ds_read_b128 v[64:67], v4 offset:4352                      // 000000007FE0: D9FE1100 40000004
	ds_read_b128 v[68:71], v4 offset:4416                      // 000000007FE8: D9FE1140 44000004
	s_waitcnt lgkmcnt(0)                                       // 000000007FF0: BF8CC07F
	v_mov_b32_e32 v18, v19                                     // 000000007FF4: 7E240313
	buffer_store_dwordx4 v[40:43], v18, s[8:11], 0 offen       // 000000007FF8: E07C1000 80022812
	buffer_store_dwordx4 v[56:59], v18, s[8:11], 0 offen offset:256// 000000008000: E07C1100 80023812
	v_add_u32_e32 v18, 0x2000, v18                             // 000000008008: 682424FF 00002000
	buffer_store_dwordx4 v[44:47], v18, s[8:11], 0 offen       // 000000008010: E07C1000 80022C12
	buffer_store_dwordx4 v[60:63], v18, s[8:11], 0 offen offset:256// 000000008018: E07C1100 80023C12
	v_add_u32_e32 v18, 0x2000, v18                             // 000000008020: 682424FF 00002000
	buffer_store_dwordx4 v[48:51], v18, s[8:11], 0 offen       // 000000008028: E07C1000 80023012
	buffer_store_dwordx4 v[64:67], v18, s[8:11], 0 offen offset:256// 000000008030: E07C1100 80024012
	v_add_u32_e32 v18, 0x2000, v18                             // 000000008038: 682424FF 00002000
	buffer_store_dwordx4 v[52:55], v18, s[8:11], 0 offen       // 000000008040: E07C1000 80023412
	buffer_store_dwordx4 v[68:71], v18, s[8:11], 0 offen offset:256// 000000008048: E07C1100 80024412
	v_add_u32_e32 v18, 0x2000, v18                             // 000000008050: 682424FF 00002000
	v_mov_b32_e32 v20, v72                                     // 000000008058: 7E280348
	v_mov_b32_e32 v21, v76                                     // 00000000805C: 7E2A034C
	v_mov_b32_e32 v22, v80                                     // 000000008060: 7E2C0350
	v_mov_b32_e32 v23, v84                                     // 000000008064: 7E2E0354
	ds_write_b128 v5, v[20:23]                                 // 000000008068: D9BE0000 00001405
	v_mov_b32_e32 v20, v73                                     // 000000008070: 7E280349
	v_mov_b32_e32 v21, v77                                     // 000000008074: 7E2A034D
	v_mov_b32_e32 v22, v81                                     // 000000008078: 7E2C0351
	v_mov_b32_e32 v23, v85                                     // 00000000807C: 7E2E0355
	ds_write_b128 v5, v[20:23] offset:1056                     // 000000008080: D9BE0420 00001405
	v_mov_b32_e32 v20, v74                                     // 000000008088: 7E28034A
	v_mov_b32_e32 v21, v78                                     // 00000000808C: 7E2A034E
	v_mov_b32_e32 v22, v82                                     // 000000008090: 7E2C0352
	v_mov_b32_e32 v23, v86                                     // 000000008094: 7E2E0356
	ds_write_b128 v5, v[20:23] offset:2112                     // 000000008098: D9BE0840 00001405
	v_mov_b32_e32 v20, v75                                     // 0000000080A0: 7E28034B
	v_mov_b32_e32 v21, v79                                     // 0000000080A4: 7E2A034F
	v_mov_b32_e32 v22, v83                                     // 0000000080A8: 7E2C0353
	v_mov_b32_e32 v23, v87                                     // 0000000080AC: 7E2E0357
	ds_write_b128 v5, v[20:23] offset:3168                     // 0000000080B0: D9BE0C60 00001405
	v_mov_b32_e32 v20, v88                                     // 0000000080B8: 7E280358
	v_mov_b32_e32 v21, v92                                     // 0000000080BC: 7E2A035C
	v_mov_b32_e32 v22, v96                                     // 0000000080C0: 7E2C0360
	v_mov_b32_e32 v23, v100                                    // 0000000080C4: 7E2E0364
	ds_write_b128 v5, v[20:23] offset:4224                     // 0000000080C8: D9BE1080 00001405
	v_mov_b32_e32 v20, v89                                     // 0000000080D0: 7E280359
	v_mov_b32_e32 v21, v93                                     // 0000000080D4: 7E2A035D
	v_mov_b32_e32 v22, v97                                     // 0000000080D8: 7E2C0361
	v_mov_b32_e32 v23, v101                                    // 0000000080DC: 7E2E0365
	ds_write_b128 v5, v[20:23] offset:5280                     // 0000000080E0: D9BE14A0 00001405
	v_mov_b32_e32 v20, v90                                     // 0000000080E8: 7E28035A
	v_mov_b32_e32 v21, v94                                     // 0000000080EC: 7E2A035E
	v_mov_b32_e32 v22, v98                                     // 0000000080F0: 7E2C0362
	v_mov_b32_e32 v23, v102                                    // 0000000080F4: 7E2E0366
	ds_write_b128 v5, v[20:23] offset:6336                     // 0000000080F8: D9BE18C0 00001405
	v_mov_b32_e32 v20, v91                                     // 000000008100: 7E28035B
	v_mov_b32_e32 v21, v95                                     // 000000008104: 7E2A035F
	v_mov_b32_e32 v22, v99                                     // 000000008108: 7E2C0363
	v_mov_b32_e32 v23, v103                                    // 00000000810C: 7E2E0367
	ds_write_b128 v5, v[20:23] offset:7392                     // 000000008110: D9BE1CE0 00001405
	s_waitcnt lgkmcnt(4)                                       // 000000008118: BF8CC47F
	ds_read_b128 v[40:43], v4                                  // 00000000811C: D9FE0000 28000004
	ds_read_b128 v[44:47], v4 offset:64                        // 000000008124: D9FE0040 2C000004
	ds_read_b128 v[48:51], v4 offset:128                       // 00000000812C: D9FE0080 30000004
	ds_read_b128 v[52:55], v4 offset:192                       // 000000008134: D9FE00C0 34000004
	s_waitcnt lgkmcnt(4)                                       // 00000000813C: BF8CC47F
	ds_read_b128 v[56:59], v4 offset:4224                      // 000000008140: D9FE1080 38000004
	ds_read_b128 v[60:63], v4 offset:4288                      // 000000008148: D9FE10C0 3C000004
	ds_read_b128 v[64:67], v4 offset:4352                      // 000000008150: D9FE1100 40000004
	ds_read_b128 v[68:71], v4 offset:4416                      // 000000008158: D9FE1140 44000004
	s_waitcnt lgkmcnt(0)                                       // 000000008160: BF8CC07F
	v_mov_b32_e32 v18, v19                                     // 000000008164: 7E240313
	buffer_store_dwordx4 v[40:43], v18, s[8:11], 0 offen offset:512// 000000008168: E07C1200 80022812
	buffer_store_dwordx4 v[56:59], v18, s[8:11], 0 offen offset:768// 000000008170: E07C1300 80023812
	v_add_u32_e32 v18, 0x2000, v18                             // 000000008178: 682424FF 00002000
	buffer_store_dwordx4 v[44:47], v18, s[8:11], 0 offen offset:512// 000000008180: E07C1200 80022C12
	buffer_store_dwordx4 v[60:63], v18, s[8:11], 0 offen offset:768// 000000008188: E07C1300 80023C12
	v_add_u32_e32 v18, 0x2000, v18                             // 000000008190: 682424FF 00002000
	buffer_store_dwordx4 v[48:51], v18, s[8:11], 0 offen offset:512// 000000008198: E07C1200 80023012
	buffer_store_dwordx4 v[64:67], v18, s[8:11], 0 offen offset:768// 0000000081A0: E07C1300 80024012
	v_add_u32_e32 v18, 0x2000, v18                             // 0000000081A8: 682424FF 00002000
	buffer_store_dwordx4 v[52:55], v18, s[8:11], 0 offen offset:512// 0000000081B0: E07C1200 80023412
	buffer_store_dwordx4 v[68:71], v18, s[8:11], 0 offen offset:768// 0000000081B8: E07C1300 80024412
	v_add_u32_e32 v18, 0x2000, v18                             // 0000000081C0: 682424FF 00002000
	v_mov_b32_e32 v20, v104                                    // 0000000081C8: 7E280368
	v_mov_b32_e32 v21, v108                                    // 0000000081CC: 7E2A036C
	v_mov_b32_e32 v22, v112                                    // 0000000081D0: 7E2C0370
	v_mov_b32_e32 v23, v116                                    // 0000000081D4: 7E2E0374
	ds_write_b128 v5, v[20:23]                                 // 0000000081D8: D9BE0000 00001405
	v_mov_b32_e32 v20, v105                                    // 0000000081E0: 7E280369
	v_mov_b32_e32 v21, v109                                    // 0000000081E4: 7E2A036D
	v_mov_b32_e32 v22, v113                                    // 0000000081E8: 7E2C0371
	v_mov_b32_e32 v23, v117                                    // 0000000081EC: 7E2E0375
	ds_write_b128 v5, v[20:23] offset:1056                     // 0000000081F0: D9BE0420 00001405
	v_mov_b32_e32 v20, v106                                    // 0000000081F8: 7E28036A
	v_mov_b32_e32 v21, v110                                    // 0000000081FC: 7E2A036E
	v_mov_b32_e32 v22, v114                                    // 000000008200: 7E2C0372
	v_mov_b32_e32 v23, v118                                    // 000000008204: 7E2E0376
	ds_write_b128 v5, v[20:23] offset:2112                     // 000000008208: D9BE0840 00001405
	v_mov_b32_e32 v20, v107                                    // 000000008210: 7E28036B
	v_mov_b32_e32 v21, v111                                    // 000000008214: 7E2A036F
	v_mov_b32_e32 v22, v115                                    // 000000008218: 7E2C0373
	v_mov_b32_e32 v23, v119                                    // 00000000821C: 7E2E0377
	ds_write_b128 v5, v[20:23] offset:3168                     // 000000008220: D9BE0C60 00001405
	v_mov_b32_e32 v20, v120                                    // 000000008228: 7E280378
	v_mov_b32_e32 v21, v124                                    // 00000000822C: 7E2A037C
	v_mov_b32_e32 v22, v128                                    // 000000008230: 7E2C0380
	v_mov_b32_e32 v23, v132                                    // 000000008234: 7E2E0384
	ds_write_b128 v5, v[20:23] offset:4224                     // 000000008238: D9BE1080 00001405
	v_mov_b32_e32 v20, v121                                    // 000000008240: 7E280379
	v_mov_b32_e32 v21, v125                                    // 000000008244: 7E2A037D
	v_mov_b32_e32 v22, v129                                    // 000000008248: 7E2C0381
	v_mov_b32_e32 v23, v133                                    // 00000000824C: 7E2E0385
	ds_write_b128 v5, v[20:23] offset:5280                     // 000000008250: D9BE14A0 00001405
	v_mov_b32_e32 v20, v122                                    // 000000008258: 7E28037A
	v_mov_b32_e32 v21, v126                                    // 00000000825C: 7E2A037E
	v_mov_b32_e32 v22, v130                                    // 000000008260: 7E2C0382
	v_mov_b32_e32 v23, v134                                    // 000000008264: 7E2E0386
	ds_write_b128 v5, v[20:23] offset:6336                     // 000000008268: D9BE18C0 00001405
	v_mov_b32_e32 v20, v123                                    // 000000008270: 7E28037B
	v_mov_b32_e32 v21, v127                                    // 000000008274: 7E2A037F
	v_mov_b32_e32 v22, v131                                    // 000000008278: 7E2C0383
	v_mov_b32_e32 v23, v135                                    // 00000000827C: 7E2E0387
	ds_write_b128 v5, v[20:23] offset:7392                     // 000000008280: D9BE1CE0 00001405
	s_waitcnt lgkmcnt(4)                                       // 000000008288: BF8CC47F
	ds_read_b128 v[40:43], v4                                  // 00000000828C: D9FE0000 28000004
	ds_read_b128 v[44:47], v4 offset:64                        // 000000008294: D9FE0040 2C000004
	ds_read_b128 v[48:51], v4 offset:128                       // 00000000829C: D9FE0080 30000004
	ds_read_b128 v[52:55], v4 offset:192                       // 0000000082A4: D9FE00C0 34000004
	s_waitcnt lgkmcnt(4)                                       // 0000000082AC: BF8CC47F
	ds_read_b128 v[56:59], v4 offset:4224                      // 0000000082B0: D9FE1080 38000004
	ds_read_b128 v[60:63], v4 offset:4288                      // 0000000082B8: D9FE10C0 3C000004
	ds_read_b128 v[64:67], v4 offset:4352                      // 0000000082C0: D9FE1100 40000004
	ds_read_b128 v[68:71], v4 offset:4416                      // 0000000082C8: D9FE1140 44000004
	s_waitcnt lgkmcnt(0)                                       // 0000000082D0: BF8CC07F
	v_mov_b32_e32 v18, v19                                     // 0000000082D4: 7E240313
	buffer_store_dwordx4 v[40:43], v18, s[8:11], 0 offen offset:1024// 0000000082D8: E07C1400 80022812
	buffer_store_dwordx4 v[56:59], v18, s[8:11], 0 offen offset:1280// 0000000082E0: E07C1500 80023812
	v_add_u32_e32 v18, 0x2000, v18                             // 0000000082E8: 682424FF 00002000
	buffer_store_dwordx4 v[44:47], v18, s[8:11], 0 offen offset:1024// 0000000082F0: E07C1400 80022C12
	buffer_store_dwordx4 v[60:63], v18, s[8:11], 0 offen offset:1280// 0000000082F8: E07C1500 80023C12
	v_add_u32_e32 v18, 0x2000, v18                             // 000000008300: 682424FF 00002000
	buffer_store_dwordx4 v[48:51], v18, s[8:11], 0 offen offset:1024// 000000008308: E07C1400 80023012
	buffer_store_dwordx4 v[64:67], v18, s[8:11], 0 offen offset:1280// 000000008310: E07C1500 80024012
	v_add_u32_e32 v18, 0x2000, v18                             // 000000008318: 682424FF 00002000
	buffer_store_dwordx4 v[52:55], v18, s[8:11], 0 offen offset:1024// 000000008320: E07C1400 80023412
	buffer_store_dwordx4 v[68:71], v18, s[8:11], 0 offen offset:1280// 000000008328: E07C1500 80024412
	v_add_u32_e32 v18, 0x2000, v18                             // 000000008330: 682424FF 00002000
	v_mov_b32_e32 v20, v136                                    // 000000008338: 7E280388
	v_mov_b32_e32 v21, v140                                    // 00000000833C: 7E2A038C
	v_mov_b32_e32 v22, v144                                    // 000000008340: 7E2C0390
	v_mov_b32_e32 v23, v148                                    // 000000008344: 7E2E0394
	ds_write_b128 v5, v[20:23]                                 // 000000008348: D9BE0000 00001405
	v_mov_b32_e32 v20, v137                                    // 000000008350: 7E280389
	v_mov_b32_e32 v21, v141                                    // 000000008354: 7E2A038D
	v_mov_b32_e32 v22, v145                                    // 000000008358: 7E2C0391
	v_mov_b32_e32 v23, v149                                    // 00000000835C: 7E2E0395
	ds_write_b128 v5, v[20:23] offset:1056                     // 000000008360: D9BE0420 00001405
	v_mov_b32_e32 v20, v138                                    // 000000008368: 7E28038A
	v_mov_b32_e32 v21, v142                                    // 00000000836C: 7E2A038E
	v_mov_b32_e32 v22, v146                                    // 000000008370: 7E2C0392
	v_mov_b32_e32 v23, v150                                    // 000000008374: 7E2E0396
	ds_write_b128 v5, v[20:23] offset:2112                     // 000000008378: D9BE0840 00001405
	v_mov_b32_e32 v20, v139                                    // 000000008380: 7E28038B
	v_mov_b32_e32 v21, v143                                    // 000000008384: 7E2A038F
	v_mov_b32_e32 v22, v147                                    // 000000008388: 7E2C0393
	v_mov_b32_e32 v23, v151                                    // 00000000838C: 7E2E0397
	ds_write_b128 v5, v[20:23] offset:3168                     // 000000008390: D9BE0C60 00001405
	v_mov_b32_e32 v20, v152                                    // 000000008398: 7E280398
	v_mov_b32_e32 v21, v156                                    // 00000000839C: 7E2A039C
	v_mov_b32_e32 v22, v160                                    // 0000000083A0: 7E2C03A0
	v_mov_b32_e32 v23, v164                                    // 0000000083A4: 7E2E03A4
	ds_write_b128 v5, v[20:23] offset:4224                     // 0000000083A8: D9BE1080 00001405
	v_mov_b32_e32 v20, v153                                    // 0000000083B0: 7E280399
	v_mov_b32_e32 v21, v157                                    // 0000000083B4: 7E2A039D
	v_mov_b32_e32 v22, v161                                    // 0000000083B8: 7E2C03A1
	v_mov_b32_e32 v23, v165                                    // 0000000083BC: 7E2E03A5
	ds_write_b128 v5, v[20:23] offset:5280                     // 0000000083C0: D9BE14A0 00001405
	v_mov_b32_e32 v20, v154                                    // 0000000083C8: 7E28039A
	v_mov_b32_e32 v21, v158                                    // 0000000083CC: 7E2A039E
	v_mov_b32_e32 v22, v162                                    // 0000000083D0: 7E2C03A2
	v_mov_b32_e32 v23, v166                                    // 0000000083D4: 7E2E03A6
	ds_write_b128 v5, v[20:23] offset:6336                     // 0000000083D8: D9BE18C0 00001405
	v_mov_b32_e32 v20, v155                                    // 0000000083E0: 7E28039B
	v_mov_b32_e32 v21, v159                                    // 0000000083E4: 7E2A039F
	v_mov_b32_e32 v22, v163                                    // 0000000083E8: 7E2C03A3
	v_mov_b32_e32 v23, v167                                    // 0000000083EC: 7E2E03A7
	ds_write_b128 v5, v[20:23] offset:7392                     // 0000000083F0: D9BE1CE0 00001405
	s_waitcnt lgkmcnt(4)                                       // 0000000083F8: BF8CC47F
	ds_read_b128 v[40:43], v4                                  // 0000000083FC: D9FE0000 28000004
	ds_read_b128 v[44:47], v4 offset:64                        // 000000008404: D9FE0040 2C000004
	ds_read_b128 v[48:51], v4 offset:128                       // 00000000840C: D9FE0080 30000004
	ds_read_b128 v[52:55], v4 offset:192                       // 000000008414: D9FE00C0 34000004
	s_waitcnt lgkmcnt(4)                                       // 00000000841C: BF8CC47F
	ds_read_b128 v[56:59], v4 offset:4224                      // 000000008420: D9FE1080 38000004
	ds_read_b128 v[60:63], v4 offset:4288                      // 000000008428: D9FE10C0 3C000004
	ds_read_b128 v[64:67], v4 offset:4352                      // 000000008430: D9FE1100 40000004
	ds_read_b128 v[68:71], v4 offset:4416                      // 000000008438: D9FE1140 44000004
	s_waitcnt lgkmcnt(0)                                       // 000000008440: BF8CC07F
	v_mov_b32_e32 v18, v19                                     // 000000008444: 7E240313
	buffer_store_dwordx4 v[40:43], v18, s[8:11], 0 offen offset:1536// 000000008448: E07C1600 80022812
	buffer_store_dwordx4 v[56:59], v18, s[8:11], 0 offen offset:1792// 000000008450: E07C1700 80023812
	v_add_u32_e32 v18, 0x2000, v18                             // 000000008458: 682424FF 00002000
	buffer_store_dwordx4 v[44:47], v18, s[8:11], 0 offen offset:1536// 000000008460: E07C1600 80022C12
	buffer_store_dwordx4 v[60:63], v18, s[8:11], 0 offen offset:1792// 000000008468: E07C1700 80023C12
	v_add_u32_e32 v18, 0x2000, v18                             // 000000008470: 682424FF 00002000
	buffer_store_dwordx4 v[48:51], v18, s[8:11], 0 offen offset:1536// 000000008478: E07C1600 80023012
	buffer_store_dwordx4 v[64:67], v18, s[8:11], 0 offen offset:1792// 000000008480: E07C1700 80024012
	v_add_u32_e32 v18, 0x2000, v18                             // 000000008488: 682424FF 00002000
	buffer_store_dwordx4 v[52:55], v18, s[8:11], 0 offen offset:1536// 000000008490: E07C1600 80023412
	buffer_store_dwordx4 v[68:71], v18, s[8:11], 0 offen offset:1792// 000000008498: E07C1700 80024412
	v_add_u32_e32 v18, 0x2000, v18                             // 0000000084A0: 682424FF 00002000
	buffer_store_dword v24, v26, s[12:15], 0 offen             // 0000000084A8: E0701000 8003181A
	s_mov_b32 s56, 0x100                                       // 0000000084B0: BEB800FF 00000100
	v_add_u32_e64 v26, v26, s56                                // 0000000084B8: D134001A 0000711A

00000000000084c0 <label_1870>:
	s_waitcnt vmcnt(0) expcnt(0) lgkmcnt(0)                    // 0000000084C0: BF8C0000
	s_endpgm                                                   // 0000000084C4: BF810000
